;; amdgpu-corpus repo=ROCm/rocFFT kind=compiled arch=gfx906 opt=O3
	.text
	.amdgcn_target "amdgcn-amd-amdhsa--gfx906"
	.amdhsa_code_object_version 6
	.protected	fft_rtc_fwd_len546_factors_13_3_7_2_wgs_117_tpt_39_halfLds_dp_ip_CI_unitstride_sbrr_C2R_dirReg ; -- Begin function fft_rtc_fwd_len546_factors_13_3_7_2_wgs_117_tpt_39_halfLds_dp_ip_CI_unitstride_sbrr_C2R_dirReg
	.globl	fft_rtc_fwd_len546_factors_13_3_7_2_wgs_117_tpt_39_halfLds_dp_ip_CI_unitstride_sbrr_C2R_dirReg
	.p2align	8
	.type	fft_rtc_fwd_len546_factors_13_3_7_2_wgs_117_tpt_39_halfLds_dp_ip_CI_unitstride_sbrr_C2R_dirReg,@function
fft_rtc_fwd_len546_factors_13_3_7_2_wgs_117_tpt_39_halfLds_dp_ip_CI_unitstride_sbrr_C2R_dirReg: ; @fft_rtc_fwd_len546_factors_13_3_7_2_wgs_117_tpt_39_halfLds_dp_ip_CI_unitstride_sbrr_C2R_dirReg
; %bb.0:
	s_load_dwordx2 s[2:3], s[4:5], 0x50
	s_load_dwordx4 s[8:11], s[4:5], 0x0
	s_load_dwordx2 s[12:13], s[4:5], 0x18
	v_mul_u32_u24_e32 v1, 0x691, v0
	v_lshrrev_b32_e32 v1, 16, v1
	v_mad_u64_u32 v[1:2], s[0:1], s6, 3, v[1:2]
	v_mov_b32_e32 v5, 0
	s_waitcnt lgkmcnt(0)
	v_cmp_lt_u64_e64 s[0:1], s[10:11], 2
	v_mov_b32_e32 v2, v5
	v_mov_b32_e32 v3, 0
	;; [unrolled: 1-line block ×3, first 2 shown]
	s_and_b64 vcc, exec, s[0:1]
	v_mov_b32_e32 v4, 0
	v_mov_b32_e32 v9, v1
	s_cbranch_vccnz .LBB0_8
; %bb.1:
	s_load_dwordx2 s[0:1], s[4:5], 0x10
	s_add_u32 s6, s12, 8
	s_addc_u32 s7, s13, 0
	v_mov_b32_e32 v3, 0
	v_mov_b32_e32 v8, v2
	s_waitcnt lgkmcnt(0)
	s_add_u32 s16, s0, 8
	s_mov_b64 s[14:15], 1
	v_mov_b32_e32 v4, 0
	s_addc_u32 s17, s1, 0
	v_mov_b32_e32 v7, v1
.LBB0_2:                                ; =>This Inner Loop Header: Depth=1
	s_load_dwordx2 s[18:19], s[16:17], 0x0
                                        ; implicit-def: $vgpr9_vgpr10
	s_waitcnt lgkmcnt(0)
	v_or_b32_e32 v6, s19, v8
	v_cmp_ne_u64_e32 vcc, 0, v[5:6]
	s_and_saveexec_b64 s[0:1], vcc
	s_xor_b64 s[20:21], exec, s[0:1]
	s_cbranch_execz .LBB0_4
; %bb.3:                                ;   in Loop: Header=BB0_2 Depth=1
	v_cvt_f32_u32_e32 v2, s18
	v_cvt_f32_u32_e32 v6, s19
	s_sub_u32 s0, 0, s18
	s_subb_u32 s1, 0, s19
	v_mac_f32_e32 v2, 0x4f800000, v6
	v_rcp_f32_e32 v2, v2
	v_mul_f32_e32 v2, 0x5f7ffffc, v2
	v_mul_f32_e32 v6, 0x2f800000, v2
	v_trunc_f32_e32 v6, v6
	v_mac_f32_e32 v2, 0xcf800000, v6
	v_cvt_u32_f32_e32 v6, v6
	v_cvt_u32_f32_e32 v2, v2
	v_mul_lo_u32 v9, s0, v6
	v_mul_hi_u32 v10, s0, v2
	v_mul_lo_u32 v12, s1, v2
	v_mul_lo_u32 v11, s0, v2
	v_add_u32_e32 v9, v10, v9
	v_add_u32_e32 v9, v9, v12
	v_mul_hi_u32 v10, v2, v11
	v_mul_lo_u32 v12, v2, v9
	v_mul_hi_u32 v14, v2, v9
	v_mul_hi_u32 v13, v6, v11
	v_mul_lo_u32 v11, v6, v11
	v_mul_hi_u32 v15, v6, v9
	v_add_co_u32_e32 v10, vcc, v10, v12
	v_addc_co_u32_e32 v12, vcc, 0, v14, vcc
	v_mul_lo_u32 v9, v6, v9
	v_add_co_u32_e32 v10, vcc, v10, v11
	v_addc_co_u32_e32 v10, vcc, v12, v13, vcc
	v_addc_co_u32_e32 v11, vcc, 0, v15, vcc
	v_add_co_u32_e32 v9, vcc, v10, v9
	v_addc_co_u32_e32 v10, vcc, 0, v11, vcc
	v_add_co_u32_e32 v2, vcc, v2, v9
	v_addc_co_u32_e32 v6, vcc, v6, v10, vcc
	v_mul_lo_u32 v9, s0, v6
	v_mul_hi_u32 v10, s0, v2
	v_mul_lo_u32 v11, s1, v2
	v_mul_lo_u32 v12, s0, v2
	v_add_u32_e32 v9, v10, v9
	v_add_u32_e32 v9, v9, v11
	v_mul_lo_u32 v13, v2, v9
	v_mul_hi_u32 v14, v2, v12
	v_mul_hi_u32 v15, v2, v9
	;; [unrolled: 1-line block ×3, first 2 shown]
	v_mul_lo_u32 v12, v6, v12
	v_mul_hi_u32 v10, v6, v9
	v_add_co_u32_e32 v13, vcc, v14, v13
	v_addc_co_u32_e32 v14, vcc, 0, v15, vcc
	v_mul_lo_u32 v9, v6, v9
	v_add_co_u32_e32 v12, vcc, v13, v12
	v_addc_co_u32_e32 v11, vcc, v14, v11, vcc
	v_addc_co_u32_e32 v10, vcc, 0, v10, vcc
	v_add_co_u32_e32 v9, vcc, v11, v9
	v_addc_co_u32_e32 v10, vcc, 0, v10, vcc
	v_add_co_u32_e32 v2, vcc, v2, v9
	v_addc_co_u32_e32 v6, vcc, v6, v10, vcc
	v_mad_u64_u32 v[9:10], s[0:1], v7, v6, 0
	v_mul_hi_u32 v11, v7, v2
	v_add_co_u32_e32 v13, vcc, v11, v9
	v_addc_co_u32_e32 v14, vcc, 0, v10, vcc
	v_mad_u64_u32 v[9:10], s[0:1], v8, v2, 0
	v_mad_u64_u32 v[11:12], s[0:1], v8, v6, 0
	v_add_co_u32_e32 v2, vcc, v13, v9
	v_addc_co_u32_e32 v2, vcc, v14, v10, vcc
	v_addc_co_u32_e32 v6, vcc, 0, v12, vcc
	v_add_co_u32_e32 v2, vcc, v2, v11
	v_addc_co_u32_e32 v6, vcc, 0, v6, vcc
	v_mul_lo_u32 v11, s19, v2
	v_mul_lo_u32 v12, s18, v6
	v_mad_u64_u32 v[9:10], s[0:1], s18, v2, 0
	v_add3_u32 v10, v10, v12, v11
	v_sub_u32_e32 v11, v8, v10
	v_mov_b32_e32 v12, s19
	v_sub_co_u32_e32 v9, vcc, v7, v9
	v_subb_co_u32_e64 v11, s[0:1], v11, v12, vcc
	v_subrev_co_u32_e64 v12, s[0:1], s18, v9
	v_subbrev_co_u32_e64 v11, s[0:1], 0, v11, s[0:1]
	v_cmp_le_u32_e64 s[0:1], s19, v11
	v_cndmask_b32_e64 v13, 0, -1, s[0:1]
	v_cmp_le_u32_e64 s[0:1], s18, v12
	v_cndmask_b32_e64 v12, 0, -1, s[0:1]
	v_cmp_eq_u32_e64 s[0:1], s19, v11
	v_cndmask_b32_e64 v11, v13, v12, s[0:1]
	v_add_co_u32_e64 v12, s[0:1], 2, v2
	v_addc_co_u32_e64 v13, s[0:1], 0, v6, s[0:1]
	v_add_co_u32_e64 v14, s[0:1], 1, v2
	v_addc_co_u32_e64 v15, s[0:1], 0, v6, s[0:1]
	v_subb_co_u32_e32 v10, vcc, v8, v10, vcc
	v_cmp_ne_u32_e64 s[0:1], 0, v11
	v_cmp_le_u32_e32 vcc, s19, v10
	v_cndmask_b32_e64 v11, v15, v13, s[0:1]
	v_cndmask_b32_e64 v13, 0, -1, vcc
	v_cmp_le_u32_e32 vcc, s18, v9
	v_cndmask_b32_e64 v9, 0, -1, vcc
	v_cmp_eq_u32_e32 vcc, s19, v10
	v_cndmask_b32_e32 v9, v13, v9, vcc
	v_cmp_ne_u32_e32 vcc, 0, v9
	v_cndmask_b32_e32 v10, v6, v11, vcc
	v_cndmask_b32_e64 v6, v14, v12, s[0:1]
	v_cndmask_b32_e32 v9, v2, v6, vcc
.LBB0_4:                                ;   in Loop: Header=BB0_2 Depth=1
	s_andn2_saveexec_b64 s[0:1], s[20:21]
	s_cbranch_execz .LBB0_6
; %bb.5:                                ;   in Loop: Header=BB0_2 Depth=1
	v_cvt_f32_u32_e32 v2, s18
	s_sub_i32 s20, 0, s18
	v_rcp_iflag_f32_e32 v2, v2
	v_mul_f32_e32 v2, 0x4f7ffffe, v2
	v_cvt_u32_f32_e32 v2, v2
	v_mul_lo_u32 v6, s20, v2
	v_mul_hi_u32 v6, v2, v6
	v_add_u32_e32 v2, v2, v6
	v_mul_hi_u32 v2, v7, v2
	v_mul_lo_u32 v6, v2, s18
	v_add_u32_e32 v9, 1, v2
	v_sub_u32_e32 v6, v7, v6
	v_subrev_u32_e32 v10, s18, v6
	v_cmp_le_u32_e32 vcc, s18, v6
	v_cndmask_b32_e32 v6, v6, v10, vcc
	v_cndmask_b32_e32 v2, v2, v9, vcc
	v_add_u32_e32 v9, 1, v2
	v_cmp_le_u32_e32 vcc, s18, v6
	v_cndmask_b32_e32 v9, v2, v9, vcc
	v_mov_b32_e32 v10, v5
.LBB0_6:                                ;   in Loop: Header=BB0_2 Depth=1
	s_or_b64 exec, exec, s[0:1]
	v_mul_lo_u32 v2, v10, s18
	v_mul_lo_u32 v6, v9, s19
	v_mad_u64_u32 v[11:12], s[0:1], v9, s18, 0
	s_load_dwordx2 s[0:1], s[6:7], 0x0
	s_add_u32 s14, s14, 1
	v_add3_u32 v2, v12, v6, v2
	v_sub_co_u32_e32 v6, vcc, v7, v11
	v_subb_co_u32_e32 v2, vcc, v8, v2, vcc
	s_waitcnt lgkmcnt(0)
	v_mul_lo_u32 v2, s0, v2
	v_mul_lo_u32 v7, s1, v6
	v_mad_u64_u32 v[3:4], s[0:1], s0, v6, v[3:4]
	s_addc_u32 s15, s15, 0
	s_add_u32 s6, s6, 8
	v_add3_u32 v4, v7, v4, v2
	v_mov_b32_e32 v6, s10
	v_mov_b32_e32 v7, s11
	s_addc_u32 s7, s7, 0
	v_cmp_ge_u64_e32 vcc, s[14:15], v[6:7]
	s_add_u32 s16, s16, 8
	s_addc_u32 s17, s17, 0
	s_cbranch_vccnz .LBB0_8
; %bb.7:                                ;   in Loop: Header=BB0_2 Depth=1
	v_mov_b32_e32 v7, v9
	v_mov_b32_e32 v8, v10
	s_branch .LBB0_2
.LBB0_8:
	s_lshl_b64 s[0:1], s[10:11], 3
	s_add_u32 s0, s12, s0
	s_addc_u32 s1, s13, s1
	s_load_dwordx2 s[0:1], s[0:1], 0x0
	s_mov_b32 s6, 0xaaaaaaab
	v_mul_hi_u32 v5, v1, s6
	s_waitcnt lgkmcnt(0)
	v_mul_lo_u32 v6, s0, v10
	v_mul_lo_u32 v7, s1, v9
	v_mad_u64_u32 v[2:3], s[0:1], s0, v9, v[3:4]
	s_load_dwordx2 s[0:1], s[4:5], 0x20
	s_mov_b32 s4, 0x6906907
	v_lshrrev_b32_e32 v4, 1, v5
	v_mul_hi_u32 v5, v0, s4
	v_lshl_add_u32 v4, v4, 1, v4
	v_sub_u32_e32 v1, v1, v4
	v_add3_u32 v3, v7, v3, v6
	v_mul_u32_u24_e32 v153, 0x223, v1
	v_mul_u32_u24_e32 v1, 39, v5
	s_waitcnt lgkmcnt(0)
	v_cmp_gt_u64_e64 s[0:1], s[0:1], v[9:10]
	v_sub_u32_e32 v4, v0, v1
	v_lshlrev_b64 v[62:63], 4, v[2:3]
	v_mov_b32_e32 v5, 0
	v_lshlrev_b32_e32 v156, 4, v153
	v_mov_b32_e32 v60, v4
	s_and_saveexec_b64 s[4:5], s[0:1]
	s_cbranch_execz .LBB0_12
; %bb.9:
	v_mov_b32_e32 v0, s3
	v_add_co_u32_e32 v3, vcc, s2, v62
	v_addc_co_u32_e32 v2, vcc, v0, v63, vcc
	v_lshlrev_b64 v[0:1], 4, v[4:5]
	s_movk_i32 s6, 0x1000
	v_add_co_u32_e32 v0, vcc, v3, v0
	v_addc_co_u32_e32 v1, vcc, v2, v1, vcc
	v_add_co_u32_e32 v59, vcc, s6, v0
	global_load_dwordx4 v[7:10], v[0:1], off
	global_load_dwordx4 v[11:14], v[0:1], off offset:624
	global_load_dwordx4 v[15:18], v[0:1], off offset:1248
	;; [unrolled: 1-line block ×5, first 2 shown]
	v_addc_co_u32_e32 v60, vcc, 0, v1, vcc
	global_load_dwordx4 v[31:34], v[0:1], off offset:3744
	global_load_dwordx4 v[35:38], v[59:60], off offset:272
	;; [unrolled: 1-line block ×8, first 2 shown]
	v_lshlrev_b32_e32 v0, 4, v4
	v_add3_u32 v6, 0, v156, v0
	v_mov_b32_e32 v0, v4
	v_cmp_eq_u32_e32 vcc, 38, v4
	v_mov_b32_e32 v1, v5
	s_waitcnt vmcnt(13)
	ds_write_b128 v6, v[7:10]
	s_waitcnt vmcnt(12)
	ds_write_b128 v6, v[11:14] offset:624
	s_waitcnt vmcnt(11)
	ds_write_b128 v6, v[15:18] offset:1248
	;; [unrolled: 2-line block ×13, first 2 shown]
	s_and_saveexec_b64 s[6:7], vcc
	s_cbranch_execz .LBB0_11
; %bb.10:
	v_add_co_u32_e32 v0, vcc, 0x2000, v3
	v_addc_co_u32_e32 v1, vcc, 0, v2, vcc
	global_load_dwordx4 v[2:5], v[0:1], off offset:544
	v_mov_b32_e32 v0, 38
	v_mov_b32_e32 v1, 0
	s_waitcnt vmcnt(0)
	ds_write_b128 v6, v[2:5] offset:8128
	v_mov_b32_e32 v4, 38
.LBB0_11:
	s_or_b64 exec, exec, s[6:7]
	v_mov_b32_e32 v60, v4
	v_mov_b32_e32 v5, v1
	;; [unrolled: 1-line block ×3, first 2 shown]
.LBB0_12:
	s_or_b64 exec, exec, s[4:5]
	v_lshl_add_u32 v152, v153, 4, 0
	v_lshlrev_b32_e32 v0, 4, v60
	v_add_u32_e32 v154, v152, v0
	s_waitcnt lgkmcnt(0)
	s_barrier
	v_sub_u32_e32 v6, v152, v0
	ds_read_b64 v[2:3], v154
	ds_read_b64 v[7:8], v6 offset:8736
	s_add_u32 s6, s8, 0x2150
	v_lshlrev_b64 v[64:65], 4, v[4:5]
	s_addc_u32 s7, s9, 0
	v_cmp_ne_u32_e32 vcc, 0, v60
	s_waitcnt lgkmcnt(0)
	v_add_f64 v[0:1], v[2:3], v[7:8]
	v_add_f64 v[2:3], v[2:3], -v[7:8]
	s_and_saveexec_b64 s[4:5], vcc
	s_xor_b64 s[4:5], exec, s[4:5]
	s_cbranch_execz .LBB0_14
; %bb.13:
	v_mov_b32_e32 v5, s7
	v_add_co_u32_e32 v4, vcc, s6, v64
	v_addc_co_u32_e32 v5, vcc, v5, v65, vcc
	global_load_dwordx4 v[7:10], v[4:5], off
	ds_read_b64 v[4:5], v6 offset:8744
	ds_read_b64 v[11:12], v154 offset:8
	s_waitcnt lgkmcnt(0)
	v_add_f64 v[13:14], v[4:5], v[11:12]
	v_add_f64 v[4:5], v[11:12], -v[4:5]
	s_waitcnt vmcnt(0)
	v_fma_f64 v[11:12], v[2:3], v[9:10], v[0:1]
	v_fma_f64 v[15:16], v[13:14], v[9:10], v[4:5]
	v_fma_f64 v[0:1], -v[2:3], v[9:10], v[0:1]
	v_fma_f64 v[4:5], v[13:14], v[9:10], -v[4:5]
	v_fma_f64 v[9:10], -v[13:14], v[7:8], v[11:12]
	v_fma_f64 v[11:12], v[2:3], v[7:8], v[15:16]
	v_fma_f64 v[0:1], v[13:14], v[7:8], v[0:1]
	;; [unrolled: 1-line block ×3, first 2 shown]
	ds_write_b128 v154, v[9:12]
	ds_write_b128 v6, v[0:3] offset:8736
                                        ; implicit-def: $vgpr0_vgpr1
.LBB0_14:
	s_andn2_saveexec_b64 s[4:5], s[4:5]
	s_cbranch_execz .LBB0_16
; %bb.15:
	ds_write_b128 v154, v[0:3]
	ds_read_b128 v[0:3], v152 offset:4368
	s_waitcnt lgkmcnt(0)
	v_add_f64 v[0:1], v[0:1], v[0:1]
	v_mul_f64 v[2:3], v[2:3], -2.0
	ds_write_b128 v152, v[0:3] offset:4368
.LBB0_16:
	s_or_b64 exec, exec, s[4:5]
	v_mov_b32_e32 v61, 0
	v_lshlrev_b64 v[66:67], 4, v[60:61]
	v_mov_b32_e32 v0, s7
	v_add_co_u32_e32 v23, vcc, s6, v66
	v_addc_co_u32_e32 v24, vcc, v0, v67, vcc
	global_load_dwordx4 v[0:3], v[23:24], off offset:624
	global_load_dwordx4 v[7:10], v[23:24], off offset:1248
	ds_read_b128 v[11:14], v154 offset:624
	ds_read_b128 v[15:18], v6 offset:8112
	global_load_dwordx4 v[19:22], v[23:24], off offset:1872
	v_lshl_add_u32 v155, v60, 4, 0
	v_add_u32_e32 v61, v155, v156
	s_mov_b32 s24, 0x4267c47c
	s_waitcnt lgkmcnt(0)
	v_add_f64 v[4:5], v[11:12], v[15:16]
	v_add_f64 v[25:26], v[17:18], v[13:14]
	v_add_f64 v[15:16], v[11:12], -v[15:16]
	v_add_f64 v[11:12], v[13:14], -v[17:18]
	s_mov_b32 s22, 0x42a4c3d2
	s_mov_b32 s26, 0x66966769
	;; [unrolled: 1-line block ×35, first 2 shown]
	v_cmp_gt_u32_e32 vcc, 3, v60
	s_waitcnt vmcnt(2)
	v_fma_f64 v[13:14], v[15:16], v[2:3], v[4:5]
	v_fma_f64 v[17:18], v[25:26], v[2:3], v[11:12]
	v_fma_f64 v[27:28], -v[15:16], v[2:3], v[4:5]
	v_fma_f64 v[29:30], v[25:26], v[2:3], -v[11:12]
	v_fma_f64 v[2:3], -v[25:26], v[0:1], v[13:14]
	v_fma_f64 v[4:5], v[15:16], v[0:1], v[17:18]
	v_fma_f64 v[11:12], v[25:26], v[0:1], v[27:28]
	v_fma_f64 v[13:14], v[15:16], v[0:1], v[29:30]
	ds_write_b128 v154, v[2:5] offset:624
	ds_write_b128 v6, v[11:14] offset:8112
	ds_read_b128 v[0:3], v154 offset:1248
	ds_read_b128 v[11:14], v6 offset:7488
	global_load_dwordx4 v[15:18], v[23:24], off offset:2496
	s_waitcnt lgkmcnt(0)
	v_add_f64 v[4:5], v[0:1], v[11:12]
	v_add_f64 v[25:26], v[13:14], v[2:3]
	v_add_f64 v[11:12], v[0:1], -v[11:12]
	v_add_f64 v[0:1], v[2:3], -v[13:14]
	s_waitcnt vmcnt(2)
	v_fma_f64 v[2:3], v[11:12], v[9:10], v[4:5]
	v_fma_f64 v[13:14], v[25:26], v[9:10], v[0:1]
	v_fma_f64 v[4:5], -v[11:12], v[9:10], v[4:5]
	v_fma_f64 v[27:28], v[25:26], v[9:10], -v[0:1]
	v_fma_f64 v[0:1], -v[25:26], v[7:8], v[2:3]
	v_fma_f64 v[2:3], v[11:12], v[7:8], v[13:14]
	v_fma_f64 v[9:10], v[25:26], v[7:8], v[4:5]
	v_fma_f64 v[11:12], v[11:12], v[7:8], v[27:28]
	ds_write_b128 v154, v[0:3] offset:1248
	ds_write_b128 v6, v[9:12] offset:7488
	ds_read_b128 v[0:3], v154 offset:1872
	ds_read_b128 v[7:10], v6 offset:6864
	global_load_dwordx4 v[11:14], v[23:24], off offset:3120
	s_waitcnt lgkmcnt(0)
	v_add_f64 v[4:5], v[0:1], v[7:8]
	v_add_f64 v[25:26], v[9:10], v[2:3]
	v_add_f64 v[27:28], v[0:1], -v[7:8]
	v_add_f64 v[0:1], v[2:3], -v[9:10]
	;; [unrolled: 19-line block ×3, first 2 shown]
	s_waitcnt vmcnt(2)
	v_fma_f64 v[2:3], v[25:26], v[17:18], v[4:5]
	v_fma_f64 v[7:8], v[23:24], v[17:18], v[0:1]
	v_fma_f64 v[4:5], -v[25:26], v[17:18], v[4:5]
	v_fma_f64 v[9:10], v[23:24], v[17:18], -v[0:1]
	v_fma_f64 v[0:1], -v[23:24], v[15:16], v[2:3]
	v_fma_f64 v[2:3], v[25:26], v[15:16], v[7:8]
	v_fma_f64 v[7:8], v[23:24], v[15:16], v[4:5]
	;; [unrolled: 1-line block ×3, first 2 shown]
	ds_write_b128 v154, v[0:3] offset:2496
	ds_write_b128 v6, v[7:10] offset:6240
	ds_read_b128 v[0:3], v154 offset:3120
	ds_read_b128 v[7:10], v6 offset:5616
	s_waitcnt lgkmcnt(0)
	v_add_f64 v[4:5], v[0:1], v[7:8]
	v_add_f64 v[15:16], v[9:10], v[2:3]
	v_add_f64 v[17:18], v[0:1], -v[7:8]
	v_add_f64 v[0:1], v[2:3], -v[9:10]
	s_waitcnt vmcnt(1)
	v_fma_f64 v[2:3], v[17:18], v[13:14], v[4:5]
	v_fma_f64 v[7:8], v[15:16], v[13:14], v[0:1]
	v_fma_f64 v[4:5], -v[17:18], v[13:14], v[4:5]
	v_fma_f64 v[9:10], v[15:16], v[13:14], -v[0:1]
	v_fma_f64 v[0:1], -v[15:16], v[11:12], v[2:3]
	v_fma_f64 v[2:3], v[17:18], v[11:12], v[7:8]
	v_fma_f64 v[7:8], v[15:16], v[11:12], v[4:5]
	;; [unrolled: 1-line block ×3, first 2 shown]
	ds_write_b128 v154, v[0:3] offset:3120
	ds_write_b128 v6, v[7:10] offset:5616
	ds_read_b128 v[0:3], v154 offset:3744
	ds_read_b128 v[7:10], v6 offset:4992
	s_waitcnt lgkmcnt(0)
	v_add_f64 v[4:5], v[0:1], v[7:8]
	v_add_f64 v[11:12], v[9:10], v[2:3]
	v_add_f64 v[13:14], v[0:1], -v[7:8]
	v_add_f64 v[0:1], v[2:3], -v[9:10]
	s_waitcnt vmcnt(0)
	v_fma_f64 v[2:3], v[13:14], v[21:22], v[4:5]
	v_fma_f64 v[7:8], v[11:12], v[21:22], v[0:1]
	v_fma_f64 v[4:5], -v[13:14], v[21:22], v[4:5]
	v_fma_f64 v[9:10], v[11:12], v[21:22], -v[0:1]
	v_fma_f64 v[0:1], -v[11:12], v[19:20], v[2:3]
	v_fma_f64 v[2:3], v[13:14], v[19:20], v[7:8]
	v_fma_f64 v[7:8], v[11:12], v[19:20], v[4:5]
	v_fma_f64 v[9:10], v[13:14], v[19:20], v[9:10]
	ds_write_b128 v154, v[0:3] offset:3744
	ds_write_b128 v6, v[7:10] offset:4992
	s_waitcnt lgkmcnt(0)
	s_barrier
	s_barrier
	ds_read_b128 v[0:3], v61 offset:672
	ds_read_b128 v[8:11], v154
	ds_read_b128 v[4:7], v61 offset:624
	ds_read_b128 v[28:31], v61 offset:1296
	;; [unrolled: 1-line block ×6, first 2 shown]
	s_waitcnt lgkmcnt(6)
	v_add_f64 v[16:17], v[8:9], v[0:1]
	v_add_f64 v[18:19], v[10:11], v[2:3]
	s_waitcnt lgkmcnt(4)
	v_add_f64 v[68:69], v[4:5], v[28:29]
	v_add_f64 v[94:95], v[6:7], v[30:31]
	ds_read_b128 v[24:27], v61 offset:2688
	ds_read_b128 v[50:53], v61 offset:3312
	;; [unrolled: 1-line block ×12, first 2 shown]
	s_waitcnt lgkmcnt(4)
	v_add_f64 v[96:97], v[40:41], v[78:79]
	s_waitcnt lgkmcnt(3)
	v_add_f64 v[100:101], v[24:25], v[82:83]
	v_add_f64 v[16:17], v[16:17], v[12:13]
	;; [unrolled: 1-line block ×4, first 2 shown]
	v_add_f64 v[120:121], v[24:25], -v[82:83]
	v_add_f64 v[122:123], v[26:27], -v[84:85]
	v_add_f64 v[98:99], v[42:43], v[80:81]
	v_add_f64 v[112:113], v[40:41], -v[78:79]
	v_add_f64 v[118:119], v[42:43], -v[80:81]
	v_add_f64 v[44:45], v[16:17], v[20:21]
	v_add_f64 v[58:59], v[18:19], v[22:23]
	s_waitcnt lgkmcnt(2)
	v_add_f64 v[108:109], v[20:21], v[86:87]
	v_add_f64 v[110:111], v[22:23], v[88:89]
	v_add_f64 v[124:125], v[20:21], -v[86:87]
	v_add_f64 v[126:127], v[22:23], -v[88:89]
	s_waitcnt lgkmcnt(1)
	v_add_f64 v[114:115], v[12:13], v[90:91]
	v_add_f64 v[116:117], v[14:15], v[92:93]
	;; [unrolled: 1-line block ×6, first 2 shown]
	v_add_f64 v[128:129], v[12:13], -v[90:91]
	v_add_f64 v[130:131], v[14:15], -v[92:93]
	v_add_f64 v[18:19], v[56:57], v[76:77]
	v_add_f64 v[106:107], v[56:57], -v[76:77]
	v_add_f64 v[40:41], v[44:45], v[40:41]
	v_add_f64 v[42:43], v[58:59], v[42:43]
	;; [unrolled: 1-line block ×4, first 2 shown]
	s_waitcnt lgkmcnt(0)
	v_add_f64 v[24:25], v[0:1], v[132:133]
	v_add_f64 v[16:17], v[54:55], v[74:75]
	v_add_f64 v[104:105], v[54:55], -v[74:75]
	v_add_f64 v[40:41], v[40:41], v[54:55]
	v_add_f64 v[42:43], v[42:43], v[56:57]
	;; [unrolled: 1-line block ×5, first 2 shown]
	v_add_f64 v[22:23], v[0:1], -v[132:133]
	v_add_f64 v[26:27], v[40:41], v[74:75]
	v_add_f64 v[40:41], v[42:43], v[76:77]
	;; [unrolled: 1-line block ×4, first 2 shown]
	v_mul_f64 v[140:141], v[22:23], s[22:23]
	v_mul_f64 v[142:143], v[22:23], s[26:27]
	;; [unrolled: 1-line block ×3, first 2 shown]
	v_add_f64 v[42:43], v[26:27], v[78:79]
	v_add_f64 v[40:41], v[40:41], v[80:81]
	;; [unrolled: 1-line block ×4, first 2 shown]
	v_add_f64 v[26:27], v[2:3], -v[134:135]
	ds_read_b128 v[0:3], v61 offset:5328
	ds_read_b128 v[12:15], v61 offset:6000
	v_mul_f64 v[146:147], v[22:23], s[28:29]
	v_add_f64 v[44:45], v[42:43], v[82:83]
	v_add_f64 v[54:55], v[40:41], v[84:85]
	s_waitcnt lgkmcnt(1)
	v_add_f64 v[56:57], v[56:57], v[0:1]
	v_add_f64 v[58:59], v[58:59], v[2:3]
	;; [unrolled: 1-line block ×4, first 2 shown]
	v_add_f64 v[42:43], v[70:71], -v[0:1]
	v_add_f64 v[70:71], v[72:73], -v[2:3]
	ds_read_b128 v[0:3], v61 offset:6672
	v_add_f64 v[54:55], v[54:55], v[88:89]
	s_waitcnt lgkmcnt(1)
	v_add_f64 v[78:79], v[56:57], v[12:13]
	v_add_f64 v[84:85], v[58:59], v[14:15]
	ds_read_b128 v[56:59], v61 offset:7344
	v_add_f64 v[76:77], v[48:49], v[14:15]
	v_add_f64 v[74:75], v[48:49], -v[14:15]
	s_waitcnt lgkmcnt(1)
	v_add_f64 v[48:49], v[50:51], v[0:1]
	v_add_f64 v[82:83], v[52:53], v[2:3]
	;; [unrolled: 1-line block ×3, first 2 shown]
	v_add_f64 v[50:51], v[50:51], -v[0:1]
	v_add_f64 v[80:81], v[52:53], -v[2:3]
	v_add_f64 v[0:1], v[78:79], v[0:1]
	v_add_f64 v[2:3], v[84:85], v[2:3]
	;; [unrolled: 1-line block ×3, first 2 shown]
	s_waitcnt lgkmcnt(0)
	v_add_f64 v[52:53], v[36:37], v[56:57]
	v_add_f64 v[86:87], v[38:39], v[58:59]
	;; [unrolled: 1-line block ×3, first 2 shown]
	v_add_f64 v[54:55], v[36:37], -v[56:57]
	v_add_f64 v[84:85], v[38:39], -v[58:59]
	v_add_f64 v[36:37], v[0:1], v[56:57]
	v_add_f64 v[38:39], v[2:3], v[58:59]
	ds_read_b128 v[0:3], v61 offset:8016
	v_add_f64 v[72:73], v[72:73], v[90:91]
	v_add_f64 v[44:45], v[46:47], v[12:13]
	v_add_f64 v[46:47], v[46:47], -v[12:13]
	v_fma_f64 v[150:151], v[20:21], s[20:21], v[140:141]
	s_waitcnt lgkmcnt(0)
	v_add_f64 v[56:57], v[32:33], v[0:1]
	v_add_f64 v[90:91], v[34:35], v[2:3]
	v_add_f64 v[58:59], v[32:33], -v[0:1]
	v_add_f64 v[88:89], v[34:35], -v[2:3]
	v_add_f64 v[32:33], v[36:37], v[0:1]
	v_add_f64 v[34:35], v[38:39], v[2:3]
	ds_read_b128 v[0:3], v61 offset:8688
	v_add_f64 v[12:13], v[72:73], v[132:133]
	v_mul_f64 v[36:37], v[26:27], s[28:29]
	v_fma_f64 v[159:160], v[20:21], s[6:7], v[142:143]
	v_fma_f64 v[142:143], v[20:21], s[6:7], -v[142:143]
	s_waitcnt lgkmcnt(0)
	v_add_f64 v[72:73], v[28:29], v[0:1]
	v_add_f64 v[94:95], v[30:31], v[2:3]
	v_add_f64 v[78:79], v[28:29], -v[0:1]
	v_add_f64 v[92:93], v[30:31], -v[2:3]
	v_add_f64 v[0:1], v[32:33], v[0:1]
	v_add_f64 v[2:3], v[34:35], v[2:3]
	v_mul_f64 v[28:29], v[26:27], s[24:25]
	v_mul_f64 v[30:31], v[26:27], s[22:23]
	v_mul_f64 v[32:33], v[26:27], s[26:27]
	v_mul_f64 v[34:35], v[26:27], s[12:13]
	v_mul_f64 v[26:27], v[26:27], s[18:19]
	v_fma_f64 v[138:139], v[24:25], s[10:11], -v[36:37]
	v_fma_f64 v[36:37], v[24:25], s[10:11], v[36:37]
	v_fma_f64 v[140:141], v[20:21], s[20:21], -v[140:141]
	v_fma_f64 v[38:39], v[24:25], s[4:5], -v[28:29]
	v_fma_f64 v[28:29], v[24:25], s[4:5], v[28:29]
	v_fma_f64 v[132:133], v[24:25], s[20:21], -v[30:31]
	v_fma_f64 v[30:31], v[24:25], s[20:21], v[30:31]
	;; [unrolled: 2-line block ×5, first 2 shown]
	v_mul_f64 v[26:27], v[22:23], s[24:25]
	v_mul_f64 v[22:23], v[22:23], s[18:19]
	v_fma_f64 v[161:162], v[20:21], s[14:15], v[144:145]
	v_fma_f64 v[144:145], v[20:21], s[14:15], -v[144:145]
	v_fma_f64 v[163:164], v[20:21], s[10:11], v[146:147]
	v_fma_f64 v[165:166], v[20:21], s[10:11], -v[146:147]
	v_add_f64 v[28:29], v[8:9], v[28:29]
	v_add_f64 v[169:170], v[8:9], v[132:133]
	v_fma_f64 v[148:149], v[20:21], s[4:5], v[26:27]
	v_fma_f64 v[26:27], v[20:21], s[4:5], -v[26:27]
	v_fma_f64 v[167:168], v[20:21], s[16:17], v[22:23]
	v_fma_f64 v[20:21], v[20:21], s[16:17], -v[22:23]
	v_add_f64 v[22:23], v[8:9], v[38:39]
	v_add_f64 v[171:172], v[10:11], v[150:151]
	;; [unrolled: 1-line block ×12, first 2 shown]
	v_mul_f64 v[8:9], v[130:131], s[22:23]
	v_add_f64 v[38:39], v[10:11], v[148:149]
	v_add_f64 v[26:27], v[10:11], v[26:27]
	;; [unrolled: 1-line block ×10, first 2 shown]
	v_fma_f64 v[10:11], v[114:115], s[20:21], -v[8:9]
	v_mul_f64 v[24:25], v[128:129], s[22:23]
	v_mul_f64 v[30:31], v[126:127], s[26:27]
	;; [unrolled: 1-line block ×4, first 2 shown]
	v_fma_f64 v[8:9], v[114:115], s[20:21], v[8:9]
	v_mul_f64 v[157:158], v[118:119], s[28:29]
	v_mul_f64 v[163:164], v[112:113], s[28:29]
	v_add_f64 v[10:11], v[10:11], v[22:23]
	v_fma_f64 v[20:21], v[116:117], s[20:21], v[24:25]
	v_fma_f64 v[22:23], v[108:109], s[6:7], -v[30:31]
	v_fma_f64 v[24:25], v[116:117], s[20:21], -v[24:25]
	v_mul_f64 v[165:166], v[106:107], s[18:19]
	v_add_f64 v[8:9], v[8:9], v[28:29]
	s_barrier
	v_add_f64 v[20:21], v[20:21], v[38:39]
	v_add_f64 v[10:11], v[22:23], v[10:11]
	v_fma_f64 v[22:23], v[110:111], s[6:7], v[34:35]
	v_mul_f64 v[38:39], v[120:121], s[12:13]
	v_add_f64 v[24:25], v[24:25], v[26:27]
	v_fma_f64 v[26:27], v[108:109], s[6:7], v[30:31]
	v_add_f64 v[20:21], v[22:23], v[20:21]
	v_fma_f64 v[22:23], v[100:101], s[14:15], -v[36:37]
	v_add_f64 v[8:9], v[26:27], v[8:9]
	v_fma_f64 v[26:27], v[110:111], s[6:7], -v[34:35]
	v_mul_f64 v[34:35], v[128:129], s[12:13]
	v_add_f64 v[10:11], v[22:23], v[10:11]
	v_fma_f64 v[22:23], v[102:103], s[14:15], v[38:39]
	v_add_f64 v[24:25], v[26:27], v[24:25]
	v_fma_f64 v[26:27], v[100:101], s[14:15], v[36:37]
	v_mul_f64 v[36:37], v[126:127], s[18:19]
	v_fma_f64 v[28:29], v[116:117], s[14:15], v[34:35]
	v_fma_f64 v[34:35], v[116:117], s[14:15], -v[34:35]
	v_add_f64 v[20:21], v[22:23], v[20:21]
	v_fma_f64 v[22:23], v[96:97], s[10:11], -v[157:158]
	v_add_f64 v[8:9], v[26:27], v[8:9]
	v_fma_f64 v[26:27], v[102:103], s[14:15], -v[38:39]
	v_fma_f64 v[30:31], v[108:109], s[16:17], -v[36:37]
	v_mul_f64 v[38:39], v[124:125], s[18:19]
	v_add_f64 v[28:29], v[28:29], v[171:172]
	v_fma_f64 v[36:37], v[108:109], s[16:17], v[36:37]
	v_add_f64 v[10:11], v[22:23], v[10:11]
	v_fma_f64 v[22:23], v[98:99], s[10:11], v[163:164]
	v_add_f64 v[34:35], v[34:35], v[175:176]
	v_add_f64 v[24:25], v[26:27], v[24:25]
	v_fma_f64 v[26:27], v[96:97], s[10:11], v[157:158]
	v_mul_f64 v[157:158], v[122:123], s[30:31]
	v_add_f64 v[22:23], v[22:23], v[20:21]
	v_fma_f64 v[20:21], v[16:17], s[16:17], -v[165:166]
	v_add_f64 v[8:9], v[26:27], v[8:9]
	v_fma_f64 v[26:27], v[98:99], s[10:11], -v[163:164]
	v_mul_f64 v[163:164], v[120:121], s[30:31]
	v_add_f64 v[20:21], v[20:21], v[10:11]
	v_mul_f64 v[10:11], v[104:105], s[18:19]
	v_add_f64 v[24:25], v[26:27], v[24:25]
	v_fma_f64 v[26:27], v[16:17], s[16:17], v[165:166]
	v_mul_f64 v[165:166], v[118:119], s[34:35]
	v_fma_f64 v[167:168], v[18:19], s[16:17], v[10:11]
	v_fma_f64 v[10:11], v[18:19], s[16:17], -v[10:11]
	v_add_f64 v[8:9], v[26:27], v[8:9]
	v_add_f64 v[22:23], v[167:168], v[22:23]
	;; [unrolled: 1-line block ×3, first 2 shown]
	v_mul_f64 v[24:25], v[130:131], s[12:13]
	v_mul_f64 v[167:168], v[112:113], s[34:35]
	v_fma_f64 v[26:27], v[114:115], s[14:15], -v[24:25]
	v_fma_f64 v[24:25], v[114:115], s[14:15], v[24:25]
	v_add_f64 v[26:27], v[26:27], v[169:170]
	v_add_f64 v[24:25], v[24:25], v[173:174]
	v_mul_f64 v[169:170], v[106:107], s[36:37]
	v_add_f64 v[26:27], v[30:31], v[26:27]
	v_fma_f64 v[30:31], v[110:111], s[16:17], v[38:39]
	v_add_f64 v[24:25], v[36:37], v[24:25]
	v_fma_f64 v[36:37], v[110:111], s[16:17], -v[38:39]
	v_add_f64 v[28:29], v[30:31], v[28:29]
	v_fma_f64 v[30:31], v[100:101], s[10:11], -v[157:158]
	v_add_f64 v[34:35], v[36:37], v[34:35]
	v_fma_f64 v[36:37], v[100:101], s[10:11], v[157:158]
	v_mul_f64 v[157:158], v[128:129], s[18:19]
	v_add_f64 v[26:27], v[30:31], v[26:27]
	v_fma_f64 v[30:31], v[102:103], s[10:11], v[163:164]
	v_add_f64 v[24:25], v[36:37], v[24:25]
	v_fma_f64 v[36:37], v[102:103], s[10:11], -v[163:164]
	v_fma_f64 v[38:39], v[116:117], s[16:17], v[157:158]
	v_add_f64 v[28:29], v[30:31], v[28:29]
	v_fma_f64 v[30:31], v[96:97], s[6:7], -v[165:166]
	v_add_f64 v[34:35], v[36:37], v[34:35]
	v_fma_f64 v[36:37], v[96:97], s[6:7], v[165:166]
	v_add_f64 v[38:39], v[38:39], v[159:160]
	v_mul_f64 v[159:160], v[126:127], s[38:39]
	v_add_f64 v[26:27], v[30:31], v[26:27]
	v_fma_f64 v[30:31], v[98:99], s[6:7], v[167:168]
	v_add_f64 v[24:25], v[36:37], v[24:25]
	v_fma_f64 v[36:37], v[98:99], s[6:7], -v[167:168]
	v_fma_f64 v[163:164], v[108:109], s[14:15], -v[159:160]
	v_add_f64 v[30:31], v[30:31], v[28:29]
	v_fma_f64 v[28:29], v[16:17], s[4:5], -v[169:170]
	v_add_f64 v[34:35], v[36:37], v[34:35]
	v_fma_f64 v[36:37], v[16:17], s[4:5], v[169:170]
	v_add_f64 v[28:29], v[28:29], v[26:27]
	v_mul_f64 v[26:27], v[104:105], s[36:37]
	v_add_f64 v[24:25], v[36:37], v[24:25]
	v_fma_f64 v[171:172], v[18:19], s[4:5], v[26:27]
	v_fma_f64 v[26:27], v[18:19], s[4:5], -v[26:27]
	v_add_f64 v[30:31], v[171:172], v[30:31]
	v_add_f64 v[26:27], v[26:27], v[34:35]
	v_mul_f64 v[34:35], v[130:131], s[18:19]
	v_fma_f64 v[36:37], v[114:115], s[16:17], -v[34:35]
	v_fma_f64 v[34:35], v[114:115], s[16:17], v[34:35]
	v_add_f64 v[36:37], v[36:37], v[177:178]
	v_add_f64 v[32:33], v[34:35], v[32:33]
	v_fma_f64 v[34:35], v[116:117], s[16:17], -v[157:158]
	v_fma_f64 v[157:158], v[108:109], s[14:15], v[159:160]
	v_add_f64 v[36:37], v[163:164], v[36:37]
	v_mul_f64 v[163:164], v[124:125], s[38:39]
	v_add_f64 v[34:35], v[34:35], v[179:180]
	v_add_f64 v[32:33], v[157:158], v[32:33]
	v_fma_f64 v[165:166], v[110:111], s[14:15], v[163:164]
	v_fma_f64 v[157:158], v[110:111], s[14:15], -v[163:164]
	v_mul_f64 v[163:164], v[130:131], s[30:31]
	v_add_f64 v[38:39], v[165:166], v[38:39]
	v_mul_f64 v[165:166], v[122:123], s[36:37]
	v_add_f64 v[34:35], v[157:158], v[34:35]
	v_fma_f64 v[167:168], v[100:101], s[4:5], -v[165:166]
	v_fma_f64 v[157:158], v[100:101], s[4:5], v[165:166]
	v_mul_f64 v[165:166], v[128:129], s[30:31]
	v_add_f64 v[36:37], v[167:168], v[36:37]
	v_mul_f64 v[167:168], v[120:121], s[36:37]
	v_add_f64 v[32:33], v[157:158], v[32:33]
	v_fma_f64 v[169:170], v[102:103], s[4:5], v[167:168]
	v_fma_f64 v[157:158], v[102:103], s[4:5], -v[167:168]
	v_add_f64 v[38:39], v[169:170], v[38:39]
	v_mul_f64 v[169:170], v[118:119], s[22:23]
	v_add_f64 v[34:35], v[157:158], v[34:35]
	v_fma_f64 v[171:172], v[96:97], s[20:21], -v[169:170]
	v_fma_f64 v[157:158], v[96:97], s[20:21], v[169:170]
	v_add_f64 v[36:37], v[171:172], v[36:37]
	v_mul_f64 v[171:172], v[112:113], s[22:23]
	v_add_f64 v[32:33], v[157:158], v[32:33]
	v_fma_f64 v[173:174], v[98:99], s[20:21], v[171:172]
	v_fma_f64 v[157:158], v[98:99], s[20:21], -v[171:172]
	v_add_f64 v[38:39], v[173:174], v[38:39]
	v_mul_f64 v[173:174], v[106:107], s[28:29]
	v_add_f64 v[34:35], v[157:158], v[34:35]
	v_fma_f64 v[175:176], v[16:17], s[10:11], -v[173:174]
	v_fma_f64 v[157:158], v[16:17], s[10:11], v[173:174]
	v_add_f64 v[36:37], v[175:176], v[36:37]
	v_mul_f64 v[175:176], v[104:105], s[28:29]
	v_add_f64 v[32:33], v[157:158], v[32:33]
	v_fma_f64 v[157:158], v[114:115], s[10:11], -v[163:164]
	v_fma_f64 v[163:164], v[114:115], s[10:11], v[163:164]
	v_fma_f64 v[159:160], v[18:19], s[10:11], -v[175:176]
	v_fma_f64 v[177:178], v[18:19], s[10:11], v[175:176]
	v_add_f64 v[157:158], v[157:158], v[181:182]
	v_add_f64 v[150:151], v[163:164], v[150:151]
	v_fma_f64 v[163:164], v[116:117], s[10:11], -v[165:166]
	v_add_f64 v[34:35], v[159:160], v[34:35]
	v_fma_f64 v[159:160], v[116:117], s[10:11], v[165:166]
	v_add_f64 v[38:39], v[177:178], v[38:39]
	v_add_f64 v[148:149], v[163:164], v[148:149]
	;; [unrolled: 1-line block ×3, first 2 shown]
	v_mul_f64 v[161:162], v[126:127], s[36:37]
	v_fma_f64 v[167:168], v[108:109], s[4:5], -v[161:162]
	v_fma_f64 v[161:162], v[108:109], s[4:5], v[161:162]
	v_add_f64 v[157:158], v[167:168], v[157:158]
	v_mul_f64 v[167:168], v[124:125], s[36:37]
	v_add_f64 v[150:151], v[161:162], v[150:151]
	v_fma_f64 v[169:170], v[110:111], s[4:5], v[167:168]
	v_fma_f64 v[161:162], v[110:111], s[4:5], -v[167:168]
	v_add_f64 v[159:160], v[169:170], v[159:160]
	v_mul_f64 v[169:170], v[122:123], s[26:27]
	v_add_f64 v[148:149], v[161:162], v[148:149]
	v_fma_f64 v[171:172], v[100:101], s[6:7], -v[169:170]
	v_fma_f64 v[161:162], v[100:101], s[6:7], v[169:170]
	v_add_f64 v[157:158], v[171:172], v[157:158]
	v_mul_f64 v[171:172], v[120:121], s[26:27]
	v_add_f64 v[150:151], v[161:162], v[150:151]
	v_fma_f64 v[173:174], v[102:103], s[6:7], v[171:172]
	v_fma_f64 v[161:162], v[102:103], s[6:7], -v[171:172]
	v_add_f64 v[159:160], v[173:174], v[159:160]
	v_mul_f64 v[173:174], v[118:119], s[40:41]
	v_add_f64 v[148:149], v[161:162], v[148:149]
	;; [unrolled: 10-line block ×3, first 2 shown]
	v_fma_f64 v[179:180], v[16:17], s[20:21], -v[177:178]
	v_fma_f64 v[148:149], v[16:17], s[20:21], v[177:178]
	v_add_f64 v[157:158], v[179:180], v[157:158]
	v_mul_f64 v[179:180], v[104:105], s[42:43]
	v_add_f64 v[148:149], v[148:149], v[150:151]
	v_fma_f64 v[163:164], v[18:19], s[20:21], -v[179:180]
	v_fma_f64 v[181:182], v[18:19], s[20:21], v[179:180]
	v_mul_f64 v[179:180], v[106:107], s[12:13]
	v_mul_f64 v[106:107], v[106:107], s[34:35]
	v_add_f64 v[150:151], v[163:164], v[161:162]
	v_mul_f64 v[161:162], v[130:131], s[34:35]
	v_add_f64 v[159:160], v[181:182], v[159:160]
	v_mul_f64 v[181:182], v[104:105], s[12:13]
	v_mul_f64 v[130:131], v[130:131], s[36:37]
	;; [unrolled: 1-line block ×3, first 2 shown]
	v_fma_f64 v[163:164], v[114:115], s[6:7], -v[161:162]
	v_fma_f64 v[161:162], v[114:115], s[6:7], v[161:162]
	v_add_f64 v[146:147], v[163:164], v[146:147]
	v_mul_f64 v[163:164], v[128:129], s[34:35]
	v_add_f64 v[142:143], v[161:162], v[142:143]
	v_mul_f64 v[128:129], v[128:129], s[36:37]
	v_fma_f64 v[165:166], v[116:117], s[6:7], v[163:164]
	v_fma_f64 v[161:162], v[116:117], s[6:7], -v[163:164]
	v_fma_f64 v[163:164], v[18:19], s[14:15], -v[181:182]
	v_add_f64 v[144:145], v[165:166], v[144:145]
	v_mul_f64 v[165:166], v[126:127], s[22:23]
	v_add_f64 v[140:141], v[161:162], v[140:141]
	v_mul_f64 v[126:127], v[126:127], s[28:29]
	v_fma_f64 v[167:168], v[108:109], s[20:21], -v[165:166]
	v_fma_f64 v[161:162], v[108:109], s[20:21], v[165:166]
	v_add_f64 v[146:147], v[167:168], v[146:147]
	v_mul_f64 v[167:168], v[124:125], s[22:23]
	v_add_f64 v[142:143], v[161:162], v[142:143]
	v_mul_f64 v[124:125], v[124:125], s[28:29]
	v_fma_f64 v[169:170], v[110:111], s[20:21], v[167:168]
	v_fma_f64 v[161:162], v[110:111], s[20:21], -v[167:168]
	v_add_f64 v[144:145], v[169:170], v[144:145]
	v_mul_f64 v[169:170], v[122:123], s[40:41]
	v_add_f64 v[140:141], v[161:162], v[140:141]
	v_fma_f64 v[171:172], v[100:101], s[16:17], -v[169:170]
	v_fma_f64 v[161:162], v[100:101], s[16:17], v[169:170]
	v_add_f64 v[146:147], v[171:172], v[146:147]
	v_mul_f64 v[171:172], v[120:121], s[40:41]
	v_add_f64 v[142:143], v[161:162], v[142:143]
	v_fma_f64 v[173:174], v[102:103], s[16:17], v[171:172]
	v_fma_f64 v[161:162], v[102:103], s[16:17], -v[171:172]
	v_add_f64 v[144:145], v[173:174], v[144:145]
	v_mul_f64 v[173:174], v[118:119], s[36:37]
	v_add_f64 v[140:141], v[161:162], v[140:141]
	v_mul_f64 v[118:119], v[118:119], s[12:13]
	v_fma_f64 v[175:176], v[96:97], s[4:5], -v[173:174]
	v_fma_f64 v[161:162], v[96:97], s[4:5], v[173:174]
	v_add_f64 v[146:147], v[175:176], v[146:147]
	v_mul_f64 v[175:176], v[112:113], s[36:37]
	v_add_f64 v[142:143], v[161:162], v[142:143]
	v_mul_f64 v[112:113], v[112:113], s[12:13]
	v_fma_f64 v[161:162], v[98:99], s[4:5], -v[175:176]
	v_fma_f64 v[177:178], v[98:99], s[4:5], v[175:176]
	v_add_f64 v[161:162], v[161:162], v[140:141]
	v_fma_f64 v[140:141], v[16:17], s[14:15], v[179:180]
	v_add_f64 v[177:178], v[177:178], v[144:145]
	v_fma_f64 v[144:145], v[16:17], s[14:15], -v[179:180]
	v_add_f64 v[140:141], v[140:141], v[142:143]
	v_add_f64 v[142:143], v[163:164], v[161:162]
	v_fma_f64 v[161:162], v[114:115], s[4:5], -v[130:131]
	v_fma_f64 v[114:115], v[114:115], s[4:5], v[130:131]
	v_add_f64 v[144:145], v[144:145], v[146:147]
	v_fma_f64 v[146:147], v[18:19], s[14:15], v[181:182]
	v_add_f64 v[138:139], v[161:162], v[138:139]
	v_fma_f64 v[161:162], v[116:117], s[4:5], v[128:129]
	v_fma_f64 v[116:117], v[116:117], s[4:5], -v[128:129]
	v_add_f64 v[114:115], v[114:115], v[132:133]
	v_add_f64 v[146:147], v[146:147], v[177:178]
	;; [unrolled: 1-line block ×3, first 2 shown]
	v_fma_f64 v[161:162], v[108:109], s[10:11], -v[126:127]
	v_add_f64 v[116:117], v[116:117], v[134:135]
	v_fma_f64 v[108:109], v[108:109], s[10:11], v[126:127]
	v_add_f64 v[138:139], v[161:162], v[138:139]
	v_fma_f64 v[161:162], v[110:111], s[10:11], v[124:125]
	v_fma_f64 v[110:111], v[110:111], s[10:11], -v[124:125]
	v_add_f64 v[108:109], v[108:109], v[114:115]
	v_add_f64 v[136:137], v[161:162], v[136:137]
	v_mul_f64 v[161:162], v[122:123], s[42:43]
	v_add_f64 v[110:111], v[110:111], v[116:117]
	v_fma_f64 v[122:123], v[100:101], s[20:21], -v[161:162]
	v_fma_f64 v[100:101], v[100:101], s[20:21], v[161:162]
	v_add_f64 v[122:123], v[122:123], v[138:139]
	v_mul_f64 v[138:139], v[120:121], s[42:43]
	v_add_f64 v[100:101], v[100:101], v[108:109]
	v_fma_f64 v[120:121], v[102:103], s[20:21], v[138:139]
	v_fma_f64 v[102:103], v[102:103], s[20:21], -v[138:139]
	v_add_f64 v[120:121], v[120:121], v[136:137]
	v_fma_f64 v[136:137], v[96:97], s[14:15], -v[118:119]
	v_add_f64 v[102:103], v[102:103], v[110:111]
	v_fma_f64 v[96:97], v[96:97], s[14:15], v[118:119]
	v_add_f64 v[122:123], v[136:137], v[122:123]
	v_fma_f64 v[136:137], v[98:99], s[14:15], v[112:113]
	v_fma_f64 v[98:99], v[98:99], s[14:15], -v[112:113]
	v_add_f64 v[96:97], v[96:97], v[100:101]
	v_mul_f64 v[100:101], v[90:91], s[20:21]
	v_add_f64 v[136:137], v[136:137], v[120:121]
	v_fma_f64 v[120:121], v[16:17], s[6:7], -v[106:107]
	v_add_f64 v[98:99], v[98:99], v[102:103]
	v_fma_f64 v[16:17], v[16:17], s[6:7], v[106:107]
	v_mul_f64 v[106:107], v[94:95], s[4:5]
	v_fma_f64 v[102:103], v[58:59], s[22:23], v[100:101]
	v_add_f64 v[120:121], v[120:121], v[122:123]
	v_fma_f64 v[122:123], v[18:19], s[6:7], v[104:105]
	v_fma_f64 v[18:19], v[18:19], s[6:7], -v[104:105]
	v_add_f64 v[124:125], v[16:17], v[96:97]
	v_mul_f64 v[96:97], v[88:89], s[22:23]
	v_add_f64 v[122:123], v[122:123], v[136:137]
	v_add_f64 v[126:127], v[18:19], v[98:99]
	v_mul_f64 v[98:99], v[92:93], s[24:25]
	v_fma_f64 v[18:19], v[56:57], s[20:21], -v[96:97]
	v_fma_f64 v[16:17], v[72:73], s[4:5], -v[98:99]
	v_add_f64 v[16:17], v[4:5], v[16:17]
	v_add_f64 v[16:17], v[18:19], v[16:17]
	v_fma_f64 v[18:19], v[78:79], s[24:25], v[106:107]
	v_add_f64 v[18:19], v[6:7], v[18:19]
	v_add_f64 v[18:19], v[102:103], v[18:19]
	v_mul_f64 v[102:103], v[84:85], s[26:27]
	v_fma_f64 v[104:105], v[52:53], s[6:7], -v[102:103]
	v_add_f64 v[16:17], v[104:105], v[16:17]
	v_mul_f64 v[104:105], v[86:87], s[6:7]
	v_fma_f64 v[108:109], v[54:55], s[26:27], v[104:105]
	v_add_f64 v[18:19], v[108:109], v[18:19]
	v_mul_f64 v[108:109], v[80:81], s[12:13]
	v_fma_f64 v[110:111], v[48:49], s[14:15], -v[108:109]
	v_add_f64 v[16:17], v[110:111], v[16:17]
	v_mul_f64 v[110:111], v[82:83], s[14:15]
	v_fma_f64 v[112:113], v[50:51], s[12:13], v[110:111]
	;; [unrolled: 6-line block ×4, first 2 shown]
	v_add_f64 v[18:19], v[128:129], v[18:19]
	v_mul_u32_u24_e32 v128, 0xd0, v60
	v_add3_u32 v128, 0, v128, v156
	ds_write_b128 v128, v[12:15]
	ds_write_b128 v128, v[20:23] offset:16
	ds_write_b128 v128, v[28:31] offset:32
	;; [unrolled: 1-line block ×12, first 2 shown]
	v_add_u32_e32 v128, 39, v60
	s_and_saveexec_b64 s[44:45], vcc
	s_cbranch_execz .LBB0_18
; %bb.17:
	v_mul_f64 v[12:13], v[94:95], s[16:17]
	v_mul_f64 v[14:15], v[92:93], s[18:19]
	;; [unrolled: 1-line block ×8, first 2 shown]
	v_fma_f64 v[22:23], v[78:79], s[40:41], v[12:13]
	v_fma_f64 v[126:127], v[72:73], s[16:17], v[14:15]
	;; [unrolled: 1-line block ×8, first 2 shown]
	v_add_f64 v[22:23], v[6:7], v[22:23]
	v_add_f64 v[126:127], v[4:5], v[126:127]
	;; [unrolled: 1-line block ×3, first 2 shown]
	v_fma_f64 v[129:130], v[54:55], s[28:29], v[129:130]
	v_fma_f64 v[145:146], v[48:49], s[20:21], v[141:142]
	v_fma_f64 v[14:15], v[72:73], s[16:17], -v[14:15]
	v_fma_f64 v[135:136], v[52:53], s[10:11], -v[135:136]
	v_mul_f64 v[147:148], v[94:95], s[10:11]
	v_add_f64 v[22:23], v[131:132], v[22:23]
	v_mul_f64 v[131:132], v[76:77], s[14:15]
	v_add_f64 v[126:127], v[137:138], v[126:127]
	v_add_f64 v[12:13], v[20:21], v[12:13]
	v_fma_f64 v[20:21], v[50:51], s[22:23], v[133:134]
	v_mul_f64 v[137:138], v[68:69], s[6:7]
	v_fma_f64 v[133:134], v[50:51], s[42:43], v[133:134]
	v_add_f64 v[14:15], v[4:5], v[14:15]
	v_add_f64 v[22:23], v[139:140], v[22:23]
	v_mul_f64 v[139:140], v[74:75], s[12:13]
	v_add_f64 v[126:127], v[143:144], v[126:127]
	v_add_f64 v[12:13], v[129:130], v[12:13]
	v_fma_f64 v[129:130], v[46:47], s[38:39], v[131:132]
	v_mul_f64 v[143:144], v[70:71], s[34:35]
	v_fma_f64 v[131:132], v[46:47], s[12:13], v[131:132]
	v_mul_f64 v[159:160], v[82:83], s[16:17]
	v_add_f64 v[20:21], v[20:21], v[22:23]
	v_fma_f64 v[22:23], v[44:45], s[14:15], v[139:140]
	v_add_f64 v[126:127], v[145:146], v[126:127]
	v_add_f64 v[12:13], v[133:134], v[12:13]
	v_fma_f64 v[133:134], v[42:43], s[26:27], v[137:138]
	v_fma_f64 v[145:146], v[56:57], s[4:5], -v[124:125]
	v_fma_f64 v[137:138], v[42:43], s[34:35], v[137:138]
	v_fma_f64 v[165:166], v[50:51], s[18:19], v[159:160]
	v_add_f64 v[20:21], v[129:130], v[20:21]
	v_fma_f64 v[129:130], v[40:41], s[6:7], v[143:144]
	v_add_f64 v[22:23], v[22:23], v[126:127]
	v_add_f64 v[131:132], v[131:132], v[12:13]
	v_fma_f64 v[139:140], v[44:45], s[14:15], -v[139:140]
	v_add_f64 v[145:146], v[145:146], v[14:15]
	v_fma_f64 v[159:160], v[50:51], s[40:41], v[159:160]
	v_mul_f64 v[169:170], v[84:85], s[36:37]
	v_add_f64 v[14:15], v[133:134], v[20:21]
	v_mul_f64 v[20:21], v[92:93], s[28:29]
	v_add_f64 v[12:13], v[129:130], v[22:23]
	v_add_f64 v[22:23], v[137:138], v[131:132]
	v_fma_f64 v[129:130], v[48:49], s[20:21], -v[141:142]
	v_mul_f64 v[131:132], v[90:91], s[6:7]
	v_fma_f64 v[133:134], v[78:79], s[30:31], v[147:148]
	v_add_f64 v[135:136], v[135:136], v[145:146]
	v_fma_f64 v[137:138], v[40:41], s[6:7], -v[143:144]
	v_mul_f64 v[141:142], v[88:89], s[34:35]
	v_fma_f64 v[143:144], v[72:73], s[10:11], v[20:21]
	v_mul_f64 v[145:146], v[86:87], s[20:21]
	v_fma_f64 v[20:21], v[72:73], s[10:11], -v[20:21]
	v_fma_f64 v[149:150], v[58:59], s[26:27], v[131:132]
	v_add_f64 v[133:134], v[6:7], v[133:134]
	v_add_f64 v[129:130], v[129:130], v[135:136]
	v_fma_f64 v[135:136], v[78:79], s[28:29], v[147:148]
	v_mul_f64 v[147:148], v[84:85], s[22:23]
	v_fma_f64 v[157:158], v[56:57], s[6:7], v[141:142]
	v_add_f64 v[143:144], v[4:5], v[143:144]
	v_fma_f64 v[161:162], v[54:55], s[42:43], v[145:146]
	v_fma_f64 v[131:132], v[58:59], s[34:35], v[131:132]
	v_add_f64 v[133:134], v[149:150], v[133:134]
	v_mul_f64 v[149:150], v[80:81], s[40:41]
	v_add_f64 v[135:136], v[6:7], v[135:136]
	v_fma_f64 v[163:164], v[52:53], s[20:21], v[147:148]
	v_fma_f64 v[145:146], v[54:55], s[22:23], v[145:146]
	v_add_f64 v[143:144], v[157:158], v[143:144]
	v_mul_f64 v[157:158], v[76:77], s[4:5]
	v_add_f64 v[129:130], v[139:140], v[129:130]
	v_add_f64 v[133:134], v[161:162], v[133:134]
	v_mul_f64 v[161:162], v[74:75], s[36:37]
	v_add_f64 v[131:132], v[131:132], v[135:136]
	v_fma_f64 v[135:136], v[48:49], s[16:17], v[149:150]
	v_fma_f64 v[141:142], v[56:57], s[6:7], -v[141:142]
	v_add_f64 v[143:144], v[163:164], v[143:144]
	v_mul_f64 v[163:164], v[68:69], s[14:15]
	v_fma_f64 v[167:168], v[46:47], s[24:25], v[157:158]
	v_add_f64 v[133:134], v[165:166], v[133:134]
	v_fma_f64 v[165:166], v[44:45], s[4:5], v[161:162]
	v_add_f64 v[131:132], v[145:146], v[131:132]
	v_mul_f64 v[145:146], v[70:71], s[12:13]
	v_fma_f64 v[161:162], v[44:45], s[4:5], -v[161:162]
	v_add_f64 v[135:136], v[135:136], v[143:144]
	v_fma_f64 v[143:144], v[46:47], s[36:37], v[157:158]
	v_fma_f64 v[139:140], v[42:43], s[38:39], v[163:164]
	;; [unrolled: 1-line block ×3, first 2 shown]
	v_add_f64 v[133:134], v[167:168], v[133:134]
	v_add_f64 v[131:132], v[159:160], v[131:132]
	v_fma_f64 v[157:158], v[40:41], s[14:15], v[145:146]
	v_mul_f64 v[159:160], v[94:95], s[14:15]
	v_add_f64 v[135:136], v[165:166], v[135:136]
	v_add_f64 v[165:166], v[4:5], v[20:21]
	;; [unrolled: 1-line block ×3, first 2 shown]
	v_fma_f64 v[137:138], v[52:53], s[20:21], -v[147:148]
	v_mul_f64 v[147:148], v[86:87], s[4:5]
	v_add_f64 v[143:144], v[143:144], v[131:132]
	v_add_f64 v[131:132], v[139:140], v[133:134]
	v_mul_f64 v[133:134], v[90:91], s[10:11]
	v_add_f64 v[129:130], v[157:158], v[135:136]
	v_add_f64 v[141:142], v[141:142], v[165:166]
	v_mul_f64 v[157:158], v[92:93], s[12:13]
	v_fma_f64 v[139:140], v[78:79], s[38:39], v[159:160]
	v_fma_f64 v[159:160], v[78:79], s[12:13], v[159:160]
	v_add_f64 v[135:136], v[163:164], v[143:144]
	v_fma_f64 v[143:144], v[48:49], s[16:17], -v[149:150]
	v_mul_f64 v[163:164], v[88:89], s[30:31]
	v_fma_f64 v[149:150], v[58:59], s[28:29], v[133:134]
	v_add_f64 v[137:138], v[137:138], v[141:142]
	v_fma_f64 v[167:168], v[72:73], s[14:15], v[157:158]
	v_add_f64 v[139:140], v[6:7], v[139:140]
	v_fma_f64 v[141:142], v[40:41], s[14:15], -v[145:146]
	v_mul_f64 v[145:146], v[82:83], s[6:7]
	v_fma_f64 v[133:134], v[58:59], s[30:31], v[133:134]
	v_fma_f64 v[171:172], v[56:57], s[10:11], v[163:164]
	v_add_f64 v[159:160], v[6:7], v[159:160]
	v_add_f64 v[137:138], v[143:144], v[137:138]
	;; [unrolled: 1-line block ×3, first 2 shown]
	v_fma_f64 v[165:166], v[54:55], s[24:25], v[147:148]
	v_add_f64 v[139:140], v[149:150], v[139:140]
	v_fma_f64 v[149:150], v[50:51], s[34:35], v[145:146]
	v_mul_f64 v[175:176], v[80:81], s[26:27]
	v_fma_f64 v[177:178], v[52:53], s[4:5], v[169:170]
	v_fma_f64 v[147:148], v[54:55], s[36:37], v[147:148]
	v_add_f64 v[137:138], v[161:162], v[137:138]
	v_add_f64 v[167:168], v[171:172], v[167:168]
	;; [unrolled: 1-line block ×3, first 2 shown]
	v_mul_f64 v[143:144], v[76:77], s[16:17]
	v_add_f64 v[139:140], v[165:166], v[139:140]
	v_mul_f64 v[165:166], v[68:69], s[20:21]
	v_mul_f64 v[161:162], v[74:75], s[40:41]
	v_fma_f64 v[171:172], v[48:49], s[6:7], v[175:176]
	v_add_f64 v[133:134], v[141:142], v[137:138]
	v_fma_f64 v[141:142], v[50:51], s[26:27], v[145:146]
	v_fma_f64 v[145:146], v[72:73], s[14:15], -v[157:158]
	v_add_f64 v[167:168], v[177:178], v[167:168]
	v_add_f64 v[147:148], v[147:148], v[159:160]
	v_fma_f64 v[159:160], v[56:57], s[10:11], -v[163:164]
	v_fma_f64 v[173:174], v[46:47], s[18:19], v[143:144]
	v_add_f64 v[139:140], v[149:150], v[139:140]
	v_fma_f64 v[149:150], v[42:43], s[22:23], v[165:166]
	v_fma_f64 v[137:138], v[44:45], s[16:17], v[161:162]
	v_add_f64 v[145:146], v[4:5], v[145:146]
	v_add_f64 v[157:158], v[171:172], v[167:168]
	v_fma_f64 v[143:144], v[46:47], s[40:41], v[143:144]
	v_add_f64 v[141:142], v[141:142], v[147:148]
	v_fma_f64 v[147:148], v[42:43], s[42:43], v[165:166]
	v_fma_f64 v[165:166], v[52:53], s[4:5], -v[169:170]
	v_mul_f64 v[163:164], v[94:95], s[6:7]
	v_mul_f64 v[167:168], v[90:91], s[16:17]
	v_add_f64 v[145:146], v[159:160], v[145:146]
	v_add_f64 v[137:138], v[137:138], v[157:158]
	v_mul_f64 v[157:158], v[92:93], s[26:27]
	v_add_f64 v[141:142], v[143:144], v[141:142]
	v_fma_f64 v[143:144], v[48:49], s[6:7], -v[175:176]
	v_mul_f64 v[159:160], v[88:89], s[18:19]
	v_fma_f64 v[169:170], v[78:79], s[34:35], v[163:164]
	v_mul_f64 v[175:176], v[86:87], s[14:15]
	v_add_f64 v[145:146], v[165:166], v[145:146]
	v_fma_f64 v[177:178], v[58:59], s[40:41], v[167:168]
	v_fma_f64 v[171:172], v[72:73], s[6:7], v[157:158]
	v_mul_f64 v[165:166], v[84:85], s[38:39]
	v_fma_f64 v[167:168], v[58:59], s[18:19], v[167:168]
	v_fma_f64 v[179:180], v[56:57], s[16:17], v[159:160]
	v_add_f64 v[169:170], v[6:7], v[169:170]
	v_add_f64 v[139:140], v[173:174], v[139:140]
	;; [unrolled: 1-line block ×3, first 2 shown]
	v_fma_f64 v[145:146], v[78:79], s[26:27], v[163:164]
	v_add_f64 v[171:172], v[4:5], v[171:172]
	v_mul_f64 v[173:174], v[70:71], s[42:43]
	v_fma_f64 v[161:162], v[44:45], s[16:17], -v[161:162]
	v_mul_f64 v[181:182], v[82:83], s[4:5]
	v_fma_f64 v[183:184], v[54:55], s[12:13], v[175:176]
	v_add_f64 v[169:170], v[177:178], v[169:170]
	v_mul_f64 v[177:178], v[80:81], s[36:37]
	v_add_f64 v[145:146], v[6:7], v[145:146]
	v_fma_f64 v[163:164], v[52:53], s[14:15], v[165:166]
	v_add_f64 v[171:172], v[179:180], v[171:172]
	v_fma_f64 v[175:176], v[54:55], s[38:39], v[175:176]
	;; [unrolled: 2-line block ×3, first 2 shown]
	v_mul_f64 v[179:180], v[76:77], s[20:21]
	v_fma_f64 v[185:186], v[50:51], s[24:25], v[181:182]
	v_add_f64 v[145:146], v[167:168], v[145:146]
	v_add_f64 v[169:170], v[183:184], v[169:170]
	v_mul_f64 v[183:184], v[74:75], s[22:23]
	v_fma_f64 v[187:188], v[48:49], s[4:5], v[177:178]
	v_add_f64 v[163:164], v[163:164], v[171:172]
	v_fma_f64 v[173:174], v[40:41], s[20:21], -v[173:174]
	v_add_f64 v[161:162], v[161:162], v[143:144]
	v_fma_f64 v[181:182], v[50:51], s[36:37], v[181:182]
	v_add_f64 v[145:146], v[175:176], v[145:146]
	v_mul_f64 v[171:172], v[68:69], s[10:11]
	v_fma_f64 v[189:190], v[46:47], s[42:43], v[179:180]
	v_add_f64 v[169:170], v[185:186], v[169:170]
	v_mul_f64 v[185:186], v[70:71], s[28:29]
	v_fma_f64 v[167:168], v[44:45], s[20:21], v[183:184]
	v_add_f64 v[163:164], v[187:188], v[163:164]
	v_add_f64 v[137:138], v[149:150], v[137:138]
	;; [unrolled: 1-line block ×4, first 2 shown]
	v_fma_f64 v[149:150], v[46:47], s[22:23], v[179:180]
	v_mul_f64 v[94:95], v[94:95], s[20:21]
	v_add_f64 v[161:162], v[181:182], v[145:146]
	v_mul_f64 v[92:93], v[92:93], s[22:23]
	v_mul_f64 v[26:27], v[72:73], s[4:5]
	;; [unrolled: 1-line block ×3, first 2 shown]
	v_fma_f64 v[187:188], v[42:43], s[30:31], v[171:172]
	v_add_f64 v[169:170], v[189:190], v[169:170]
	v_fma_f64 v[175:176], v[40:41], s[10:11], v[185:186]
	v_add_f64 v[163:164], v[167:168], v[163:164]
	v_fma_f64 v[157:158], v[72:73], s[6:7], -v[157:158]
	v_mul_f64 v[90:91], v[90:91], s[14:15]
	v_fma_f64 v[167:168], v[78:79], s[42:43], v[94:95]
	v_add_f64 v[149:150], v[149:150], v[161:162]
	v_mul_f64 v[88:89], v[88:89], s[12:13]
	v_fma_f64 v[161:162], v[72:73], s[20:21], v[92:93]
	v_fma_f64 v[78:79], v[78:79], s[22:23], v[94:95]
	v_fma_f64 v[72:73], v[72:73], s[20:21], -v[92:93]
	v_mul_f64 v[24:25], v[56:57], s[20:21]
	v_mul_f64 v[34:35], v[58:59], s[22:23]
	v_add_f64 v[32:33], v[106:107], -v[32:33]
	v_add_f64 v[26:27], v[26:27], v[98:99]
	v_add_f64 v[147:148], v[187:188], v[169:170]
	;; [unrolled: 1-line block ×3, first 2 shown]
	v_fma_f64 v[163:164], v[42:43], s[28:29], v[171:172]
	v_fma_f64 v[159:160], v[56:57], s[16:17], -v[159:160]
	v_add_f64 v[157:158], v[4:5], v[157:158]
	v_mul_f64 v[86:87], v[86:87], s[16:17]
	v_fma_f64 v[169:170], v[58:59], s[38:39], v[90:91]
	v_mul_f64 v[84:85], v[84:85], s[18:19]
	v_fma_f64 v[171:172], v[56:57], s[14:15], v[88:89]
	v_fma_f64 v[58:59], v[58:59], s[12:13], v[90:91]
	v_add_f64 v[78:79], v[6:7], v[78:79]
	v_fma_f64 v[56:57], v[56:57], s[14:15], -v[88:89]
	v_add_f64 v[72:73], v[4:5], v[72:73]
	v_mul_f64 v[28:29], v[52:53], s[6:7]
	v_mul_f64 v[30:31], v[54:55], s[26:27]
	v_add_f64 v[167:168], v[6:7], v[167:168]
	v_add_f64 v[161:162], v[4:5], v[161:162]
	v_add_f64 v[34:35], v[100:101], -v[34:35]
	v_add_f64 v[6:7], v[6:7], v[32:33]
	v_add_f64 v[24:25], v[24:25], v[96:97]
	;; [unrolled: 1-line block ×3, first 2 shown]
	v_fma_f64 v[165:166], v[52:53], s[14:15], -v[165:166]
	v_add_f64 v[157:158], v[159:160], v[157:158]
	v_mul_f64 v[82:83], v[82:83], s[10:11]
	v_fma_f64 v[159:160], v[54:55], s[40:41], v[86:87]
	v_mul_f64 v[80:81], v[80:81], s[30:31]
	v_fma_f64 v[173:174], v[52:53], s[16:17], v[84:85]
	v_fma_f64 v[26:27], v[54:55], s[18:19], v[86:87]
	v_add_f64 v[32:33], v[58:59], v[78:79]
	v_fma_f64 v[52:53], v[52:53], s[16:17], -v[84:85]
	v_add_f64 v[54:55], v[56:57], v[72:73]
	v_mul_f64 v[120:121], v[48:49], s[14:15]
	v_add_f64 v[30:31], v[104:105], -v[30:31]
	v_add_f64 v[6:7], v[34:35], v[6:7]
	v_add_f64 v[28:29], v[28:29], v[102:103]
	;; [unrolled: 1-line block ×3, first 2 shown]
	v_mul_f64 v[122:123], v[50:51], s[12:13]
	v_add_f64 v[167:168], v[169:170], v[167:168]
	v_add_f64 v[161:162], v[171:172], v[161:162]
	v_mul_f64 v[76:77], v[76:77], s[6:7]
	v_mul_f64 v[74:75], v[74:75], s[34:35]
	v_fma_f64 v[24:25], v[50:51], s[30:31], v[82:83]
	v_add_f64 v[26:27], v[26:27], v[32:33]
	v_fma_f64 v[32:33], v[48:49], s[10:11], -v[80:81]
	v_add_f64 v[34:35], v[52:53], v[54:55]
	v_fma_f64 v[169:170], v[48:49], s[4:5], -v[177:178]
	v_add_f64 v[157:158], v[165:166], v[157:158]
	v_mul_f64 v[36:37], v[44:45], s[10:11]
	v_add_f64 v[6:7], v[30:31], v[6:7]
	v_add_f64 v[30:31], v[120:121], v[108:109]
	;; [unrolled: 1-line block ×3, first 2 shown]
	v_mul_f64 v[38:39], v[46:47], s[28:29]
	v_fma_f64 v[165:166], v[50:51], s[28:29], v[82:83]
	v_add_f64 v[159:160], v[159:160], v[167:168]
	v_fma_f64 v[171:172], v[48:49], s[10:11], v[80:81]
	v_add_f64 v[161:162], v[173:174], v[161:162]
	v_add_f64 v[48:49], v[110:111], -v[122:123]
	v_mul_f64 v[68:69], v[68:69], s[4:5]
	v_mul_f64 v[70:71], v[70:71], s[36:37]
	v_fma_f64 v[28:29], v[46:47], s[34:35], v[76:77]
	v_add_f64 v[24:25], v[24:25], v[26:27]
	v_fma_f64 v[26:27], v[44:45], s[6:7], -v[74:75]
	v_add_f64 v[32:33], v[32:33], v[34:35]
	v_fma_f64 v[167:168], v[44:45], s[20:21], -v[183:184]
	v_add_f64 v[157:158], v[169:170], v[157:158]
	v_mul_f64 v[124:125], v[40:41], s[16:17]
	v_add_f64 v[36:37], v[36:37], v[112:113]
	v_add_f64 v[4:5], v[30:31], v[4:5]
	v_mul_f64 v[126:127], v[42:43], s[18:19]
	v_fma_f64 v[169:170], v[46:47], s[26:27], v[76:77]
	v_add_f64 v[159:160], v[165:166], v[159:160]
	v_fma_f64 v[173:174], v[44:45], s[6:7], v[74:75]
	v_add_f64 v[161:162], v[171:172], v[161:162]
	v_add_f64 v[34:35], v[114:115], -v[38:39]
	v_add_f64 v[6:7], v[48:49], v[6:7]
	v_fma_f64 v[30:31], v[42:43], s[36:37], v[68:69]
	v_add_f64 v[24:25], v[28:29], v[24:25]
	v_fma_f64 v[28:29], v[40:41], s[4:5], -v[70:71]
	v_add_f64 v[32:33], v[26:27], v[32:33]
	v_fma_f64 v[165:166], v[40:41], s[10:11], -v[185:186]
	v_add_f64 v[157:158], v[167:168], v[157:158]
	v_fma_f64 v[92:93], v[40:41], s[4:5], v[70:71]
	v_add_f64 v[40:41], v[124:125], v[116:117]
	v_add_f64 v[36:37], v[36:37], v[4:5]
	v_fma_f64 v[167:168], v[42:43], s[24:25], v[68:69]
	v_add_f64 v[94:95], v[169:170], v[159:160]
	v_add_f64 v[106:107], v[173:174], v[161:162]
	v_add_f64 v[38:39], v[118:119], -v[126:127]
	v_add_f64 v[34:35], v[34:35], v[6:7]
	v_add_f64 v[30:31], v[30:31], v[24:25]
	;; [unrolled: 1-line block ×6, first 2 shown]
	v_mul_u32_u24_e32 v36, 0xd0, v128
	v_add3_u32 v36, 0, v36, v156
	v_add_f64 v[26:27], v[167:168], v[94:95]
	v_add_f64 v[24:25], v[92:93], v[106:107]
	;; [unrolled: 1-line block ×3, first 2 shown]
	ds_write_b128 v36, v[0:3]
	ds_write_b128 v36, v[16:19] offset:16
	ds_write_b128 v36, v[28:31] offset:32
	;; [unrolled: 1-line block ×12, first 2 shown]
.LBB0_18:
	s_or_b64 exec, exec, s[44:45]
	s_waitcnt lgkmcnt(0)
	s_barrier
	ds_read_b128 v[12:15], v154
	ds_read_b128 v[4:7], v61 offset:624
	ds_read_b128 v[44:47], v61 offset:2912
	;; [unrolled: 1-line block ×11, first 2 shown]
	v_cmp_gt_u32_e32 vcc, 26, v60
	s_and_saveexec_b64 s[4:5], vcc
	s_cbranch_execz .LBB0_20
; %bb.19:
	ds_read_b128 v[8:11], v61 offset:2496
	ds_read_b128 v[0:3], v61 offset:5408
	;; [unrolled: 1-line block ×3, first 2 shown]
.LBB0_20:
	s_or_b64 exec, exec, s[4:5]
	s_movk_i32 s12, 0x4f
	v_mul_lo_u16_sdwa v68, v60, s12 dst_sel:DWORD dst_unused:UNUSED_PAD src0_sel:BYTE_0 src1_sel:DWORD
	v_lshrrev_b16_e32 v117, 10, v68
	v_mul_lo_u16_e32 v68, 13, v117
	v_sub_u16_e32 v118, v60, v68
	v_mov_b32_e32 v68, 5
	v_lshlrev_b32_sdwa v77, v68, v118 dst_sel:DWORD dst_unused:UNUSED_PAD src0_sel:DWORD src1_sel:BYTE_0
	global_load_dwordx4 v[69:72], v77, s[8:9] offset:16
	global_load_dwordx4 v[73:76], v77, s[8:9]
	v_mul_lo_u16_sdwa v77, v128, s12 dst_sel:DWORD dst_unused:UNUSED_PAD src0_sel:BYTE_0 src1_sel:DWORD
	v_lshrrev_b16_e32 v119, 10, v77
	v_mul_lo_u16_e32 v77, 13, v119
	v_sub_u16_e32 v120, v128, v77
	v_lshlrev_b32_sdwa v85, v68, v120 dst_sel:DWORD dst_unused:UNUSED_PAD src0_sel:DWORD src1_sel:BYTE_0
	global_load_dwordx4 v[77:80], v85, s[8:9] offset:16
	global_load_dwordx4 v[81:84], v85, s[8:9]
	v_add_u16_e32 v85, 0x4e, v60
	v_mul_lo_u16_sdwa v86, v85, s12 dst_sel:DWORD dst_unused:UNUSED_PAD src0_sel:BYTE_0 src1_sel:DWORD
	v_lshrrev_b16_e32 v121, 10, v86
	v_mul_lo_u16_e32 v86, 13, v121
	v_sub_u16_e32 v122, v85, v86
	v_lshlrev_b32_sdwa v93, v68, v122 dst_sel:DWORD dst_unused:UNUSED_PAD src0_sel:DWORD src1_sel:BYTE_0
	global_load_dwordx4 v[85:88], v93, s[8:9] offset:16
	global_load_dwordx4 v[89:92], v93, s[8:9]
	v_add_u16_e32 v93, 0x75, v60
	v_mul_lo_u16_sdwa v94, v93, s12 dst_sel:DWORD dst_unused:UNUSED_PAD src0_sel:BYTE_0 src1_sel:DWORD
	v_lshrrev_b16_e32 v123, 10, v94
	v_mul_lo_u16_e32 v94, 13, v123
	v_sub_u16_e32 v124, v93, v94
	v_lshlrev_b32_sdwa v101, v68, v124 dst_sel:DWORD dst_unused:UNUSED_PAD src0_sel:DWORD src1_sel:BYTE_0
	global_load_dwordx4 v[93:96], v101, s[8:9]
	global_load_dwordx4 v[97:100], v101, s[8:9] offset:16
	s_mov_b32 s4, 0xe8584caa
	s_mov_b32 s5, 0x3febb67a
	;; [unrolled: 1-line block ×4, first 2 shown]
	s_movk_i32 s13, 0x270
	s_waitcnt vmcnt(0) lgkmcnt(0)
	s_barrier
	v_mul_f64 v[103:104], v[50:51], v[71:72]
	v_mul_f64 v[101:102], v[46:47], v[75:76]
	;; [unrolled: 1-line block ×8, first 2 shown]
	v_fma_f64 v[44:45], v[44:45], v[73:74], -v[101:102]
	v_fma_f64 v[46:47], v[46:47], v[73:74], v[75:76]
	v_fma_f64 v[48:49], v[48:49], v[69:70], -v[103:104]
	v_mul_f64 v[111:112], v[58:59], v[87:88]
	v_mul_f64 v[109:110], v[54:55], v[91:92]
	;; [unrolled: 1-line block ×4, first 2 shown]
	v_fma_f64 v[50:51], v[50:51], v[69:70], v[71:72]
	v_fma_f64 v[28:29], v[28:29], v[81:82], -v[105:106]
	v_fma_f64 v[30:31], v[30:31], v[81:82], v[83:84]
	v_mul_f64 v[113:114], v[38:39], v[95:96]
	v_mul_f64 v[95:96], v[36:37], v[95:96]
	;; [unrolled: 1-line block ×4, first 2 shown]
	v_fma_f64 v[32:33], v[32:33], v[77:78], -v[107:108]
	v_fma_f64 v[34:35], v[34:35], v[77:78], v[79:80]
	v_fma_f64 v[52:53], v[52:53], v[89:90], -v[109:110]
	v_fma_f64 v[54:55], v[54:55], v[89:90], v[91:92]
	;; [unrolled: 2-line block ×5, first 2 shown]
	v_add_f64 v[42:43], v[12:13], v[44:45]
	v_add_f64 v[69:70], v[44:45], v[48:49]
	v_add_f64 v[73:74], v[46:47], -v[50:51]
	v_add_f64 v[75:76], v[14:15], v[46:47]
	v_add_f64 v[46:47], v[46:47], v[50:51]
	;; [unrolled: 1-line block ×5, first 2 shown]
	v_add_f64 v[93:94], v[54:55], -v[58:59]
	v_add_f64 v[95:96], v[22:23], v[54:55]
	v_add_f64 v[54:55], v[54:55], v[58:59]
	;; [unrolled: 1-line block ×4, first 2 shown]
	v_add_f64 v[101:102], v[38:39], -v[71:72]
	v_add_f64 v[103:104], v[26:27], v[38:39]
	v_add_f64 v[38:39], v[38:39], v[71:72]
	v_add_f64 v[44:45], v[44:45], -v[48:49]
	v_add_f64 v[77:78], v[4:5], v[28:29]
	v_add_f64 v[87:88], v[28:29], -v[32:33]
	;; [unrolled: 2-line block ×4, first 2 shown]
	v_add_f64 v[28:29], v[42:43], v[48:49]
	v_fma_f64 v[36:37], v[69:70], -0.5, v[12:13]
	v_fma_f64 v[42:43], v[46:47], -0.5, v[14:15]
	v_add_f64 v[81:82], v[30:31], -v[34:35]
	v_fma_f64 v[4:5], v[79:80], -0.5, v[4:5]
	v_fma_f64 v[6:7], v[85:86], -0.5, v[6:7]
	v_add_f64 v[30:31], v[75:76], v[50:51]
	v_fma_f64 v[50:51], v[91:92], -0.5, v[20:21]
	v_fma_f64 v[22:23], v[54:55], -0.5, v[22:23]
	v_add_f64 v[14:15], v[83:84], v[34:35]
	v_add_f64 v[34:35], v[95:96], v[58:59]
	v_fma_f64 v[58:59], v[99:100], -0.5, v[24:25]
	v_fma_f64 v[75:76], v[38:39], -0.5, v[26:27]
	v_fma_f64 v[24:25], v[73:74], s[4:5], v[36:37]
	v_fma_f64 v[26:27], v[44:45], s[6:7], v[42:43]
	v_add_f64 v[12:13], v[77:78], v[32:33]
	v_fma_f64 v[36:37], v[73:74], s[6:7], v[36:37]
	v_fma_f64 v[38:39], v[44:45], s[4:5], v[42:43]
	v_add_f64 v[20:21], v[52:53], v[40:41]
	;; [unrolled: 3-line block ×3, first 2 shown]
	v_fma_f64 v[44:45], v[81:82], s[6:7], v[4:5]
	v_fma_f64 v[46:47], v[87:88], s[4:5], v[6:7]
	;; [unrolled: 1-line block ×5, first 2 shown]
	v_mov_b32_e32 v4, 4
	v_fma_f64 v[54:55], v[97:98], s[4:5], v[22:23]
	v_add_f64 v[22:23], v[103:104], v[71:72]
	v_mad_u32_u24 v5, v117, s13, 0
	v_lshlrev_b32_sdwa v6, v4, v118 dst_sel:DWORD dst_unused:UNUSED_PAD src0_sel:DWORD src1_sel:BYTE_0
	v_fma_f64 v[56:57], v[101:102], s[4:5], v[58:59]
	v_fma_f64 v[69:70], v[101:102], s[6:7], v[58:59]
	;; [unrolled: 1-line block ×3, first 2 shown]
	v_add3_u32 v5, v5, v6, v156
	v_fma_f64 v[71:72], v[105:106], s[4:5], v[75:76]
	ds_write_b128 v5, v[28:31]
	ds_write_b128 v5, v[24:27] offset:208
	ds_write_b128 v5, v[36:39] offset:416
	v_mad_u32_u24 v5, v119, s13, 0
	v_lshlrev_b32_sdwa v6, v4, v120 dst_sel:DWORD dst_unused:UNUSED_PAD src0_sel:DWORD src1_sel:BYTE_0
	v_add3_u32 v5, v5, v6, v156
	ds_write_b128 v5, v[12:15]
	ds_write_b128 v5, v[40:43] offset:208
	ds_write_b128 v5, v[44:47] offset:416
	v_mad_u32_u24 v5, v121, s13, 0
	v_lshlrev_b32_sdwa v6, v4, v122 dst_sel:DWORD dst_unused:UNUSED_PAD src0_sel:DWORD src1_sel:BYTE_0
	v_add3_u32 v5, v5, v6, v156
	;; [unrolled: 6-line block ×3, first 2 shown]
	ds_write_b128 v5, v[20:23]
	ds_write_b128 v5, v[56:59] offset:208
	ds_write_b128 v5, v[69:72] offset:416
	s_and_saveexec_b64 s[10:11], vcc
	s_cbranch_execz .LBB0_22
; %bb.21:
	v_add_u16_e32 v5, 0x9c, v60
	v_mul_lo_u16_sdwa v6, v5, s12 dst_sel:DWORD dst_unused:UNUSED_PAD src0_sel:BYTE_0 src1_sel:DWORD
	v_lshrrev_b16_e32 v26, 10, v6
	v_mul_lo_u16_e32 v6, 13, v26
	v_sub_u16_e32 v27, v5, v6
	v_lshlrev_b32_sdwa v5, v68, v27 dst_sel:DWORD dst_unused:UNUSED_PAD src0_sel:DWORD src1_sel:BYTE_0
	global_load_dwordx4 v[12:15], v5, s[8:9]
	global_load_dwordx4 v[20:23], v5, s[8:9] offset:16
	v_lshlrev_b32_sdwa v4, v4, v27 dst_sel:DWORD dst_unused:UNUSED_PAD src0_sel:DWORD src1_sel:BYTE_0
	s_waitcnt vmcnt(1)
	v_mul_f64 v[5:6], v[0:1], v[14:15]
	s_waitcnt vmcnt(0)
	v_mul_f64 v[24:25], v[16:17], v[22:23]
	v_mul_f64 v[14:15], v[2:3], v[14:15]
	;; [unrolled: 1-line block ×3, first 2 shown]
	v_fma_f64 v[2:3], v[2:3], v[12:13], v[5:6]
	v_fma_f64 v[5:6], v[18:19], v[20:21], v[24:25]
	v_fma_f64 v[0:1], v[0:1], v[12:13], -v[14:15]
	v_fma_f64 v[12:13], v[16:17], v[20:21], -v[22:23]
	v_add_f64 v[20:21], v[10:11], v[2:3]
	v_add_f64 v[14:15], v[2:3], v[5:6]
	;; [unrolled: 1-line block ×3, first 2 shown]
	v_add_f64 v[18:19], v[0:1], -v[12:13]
	v_add_f64 v[0:1], v[8:9], v[0:1]
	v_fma_f64 v[10:11], v[14:15], -0.5, v[10:11]
	v_add_f64 v[14:15], v[2:3], -v[5:6]
	v_fma_f64 v[16:17], v[16:17], -0.5, v[8:9]
	v_add_f64 v[2:3], v[20:21], v[5:6]
	v_add_f64 v[0:1], v[0:1], v[12:13]
	v_mad_u32_u24 v13, v26, s13, 0
	v_add3_u32 v4, v13, v4, v156
	v_fma_f64 v[7:8], v[18:19], s[4:5], v[10:11]
	v_fma_f64 v[11:12], v[18:19], s[6:7], v[10:11]
	v_fma_f64 v[9:10], v[14:15], s[4:5], v[16:17]
	v_fma_f64 v[5:6], v[14:15], s[6:7], v[16:17]
	ds_write_b128 v4, v[0:3]
	ds_write_b128 v4, v[9:12] offset:208
	ds_write_b128 v4, v[5:8] offset:416
.LBB0_22:
	s_or_b64 exec, exec, s[10:11]
	v_mul_u32_u24_e32 v0, 6, v60
	v_lshlrev_b32_e32 v24, 4, v0
	s_waitcnt lgkmcnt(0)
	s_barrier
	global_load_dwordx4 v[0:3], v24, s[8:9] offset:416
	global_load_dwordx4 v[4:7], v24, s[8:9] offset:432
	;; [unrolled: 1-line block ×6, first 2 shown]
	ds_read_b128 v[24:27], v154
	ds_read_b128 v[28:31], v61 offset:624
	ds_read_b128 v[32:35], v61 offset:1248
	ds_read_b128 v[36:39], v61 offset:1872
	ds_read_b128 v[40:43], v61 offset:2496
	ds_read_b128 v[44:47], v61 offset:3120
	ds_read_b128 v[48:51], v61 offset:3744
	ds_read_b128 v[52:55], v61 offset:4368
	ds_read_b128 v[56:59], v61 offset:4992
	ds_read_b128 v[68:71], v61 offset:5616
	ds_read_b128 v[72:75], v61 offset:6240
	ds_read_b128 v[76:79], v61 offset:6864
	ds_read_b128 v[80:83], v61 offset:7488
	ds_read_b128 v[84:87], v61 offset:8112
	s_mov_b32 s6, 0x37e14327
	s_mov_b32 s10, 0x429ad128
	;; [unrolled: 1-line block ×20, first 2 shown]
	s_waitcnt vmcnt(0) lgkmcnt(0)
	s_barrier
	v_mul_f64 v[88:89], v[34:35], v[2:3]
	v_mul_f64 v[90:91], v[32:33], v[2:3]
	;; [unrolled: 1-line block ×16, first 2 shown]
	v_fma_f64 v[32:33], v[32:33], v[0:1], -v[88:89]
	v_fma_f64 v[34:35], v[34:35], v[0:1], v[90:91]
	v_fma_f64 v[40:41], v[40:41], v[4:5], -v[92:93]
	v_fma_f64 v[42:43], v[42:43], v[4:5], v[94:95]
	;; [unrolled: 2-line block ×4, first 2 shown]
	v_mul_f64 v[114:115], v[46:47], v[6:7]
	v_mul_f64 v[6:7], v[44:45], v[6:7]
	;; [unrolled: 1-line block ×6, first 2 shown]
	v_fma_f64 v[48:49], v[48:49], v[8:9], -v[96:97]
	v_fma_f64 v[50:51], v[50:51], v[8:9], v[98:99]
	v_fma_f64 v[56:57], v[56:57], v[12:13], -v[100:101]
	v_fma_f64 v[58:59], v[58:59], v[12:13], v[102:103]
	;; [unrolled: 2-line block ×4, first 2 shown]
	v_add_f64 v[0:1], v[32:33], v[80:81]
	v_add_f64 v[2:3], v[34:35], v[82:83]
	;; [unrolled: 1-line block ×4, first 2 shown]
	v_fma_f64 v[44:45], v[44:45], v[4:5], -v[114:115]
	v_fma_f64 v[46:47], v[46:47], v[4:5], v[6:7]
	v_fma_f64 v[68:69], v[68:69], v[12:13], -v[118:119]
	v_fma_f64 v[70:71], v[70:71], v[12:13], v[14:15]
	v_fma_f64 v[76:77], v[76:77], v[16:17], -v[120:121]
	v_fma_f64 v[78:79], v[78:79], v[16:17], v[18:19]
	v_add_f64 v[4:5], v[32:33], -v[80:81]
	v_add_f64 v[6:7], v[34:35], -v[82:83]
	;; [unrolled: 1-line block ×4, first 2 shown]
	v_add_f64 v[16:17], v[48:49], v[56:57]
	v_add_f64 v[18:19], v[50:51], v[58:59]
	v_add_f64 v[32:33], v[56:57], -v[48:49]
	v_add_f64 v[34:35], v[58:59], -v[50:51]
	v_add_f64 v[40:41], v[8:9], v[0:1]
	v_add_f64 v[42:43], v[10:11], v[2:3]
	v_add_f64 v[48:49], v[8:9], -v[0:1]
	v_add_f64 v[50:51], v[10:11], -v[2:3]
	;; [unrolled: 1-line block ×6, first 2 shown]
	v_add_f64 v[56:57], v[32:33], v[12:13]
	v_add_f64 v[58:59], v[34:35], v[14:15]
	v_add_f64 v[72:73], v[32:33], -v[12:13]
	v_add_f64 v[74:75], v[34:35], -v[14:15]
	;; [unrolled: 1-line block ×4, first 2 shown]
	v_add_f64 v[16:17], v[16:17], v[40:41]
	v_add_f64 v[18:19], v[18:19], v[42:43]
	v_add_f64 v[32:33], v[4:5], -v[32:33]
	v_add_f64 v[34:35], v[6:7], -v[34:35]
	v_mul_f64 v[40:41], v[0:1], s[6:7]
	v_mul_f64 v[42:43], v[2:3], s[6:7]
	;; [unrolled: 1-line block ×4, first 2 shown]
	v_add_f64 v[0:1], v[24:25], v[16:17]
	v_add_f64 v[2:3], v[26:27], v[18:19]
	v_mul_f64 v[24:25], v[12:13], s[10:11]
	v_mul_f64 v[26:27], v[14:15], s[10:11]
	v_add_f64 v[4:5], v[56:57], v[4:5]
	v_add_f64 v[6:7], v[58:59], v[6:7]
	v_mul_f64 v[56:57], v[8:9], s[4:5]
	v_mul_f64 v[58:59], v[10:11], s[4:5]
	;; [unrolled: 1-line block ×4, first 2 shown]
	v_fma_f64 v[8:9], v[8:9], s[4:5], v[40:41]
	v_fma_f64 v[10:11], v[10:11], s[4:5], v[42:43]
	;; [unrolled: 1-line block ×4, first 2 shown]
	v_fma_f64 v[40:41], v[48:49], s[18:19], -v[40:41]
	v_fma_f64 v[42:43], v[50:51], s[18:19], -v[42:43]
	;; [unrolled: 1-line block ×6, first 2 shown]
	v_fma_f64 v[48:49], v[32:33], s[20:21], v[72:73]
	v_fma_f64 v[50:51], v[34:35], s[20:21], v[74:75]
	v_fma_f64 v[12:13], v[12:13], s[10:11], -v[72:73]
	v_fma_f64 v[14:15], v[14:15], s[10:11], -v[74:75]
	v_add_f64 v[40:41], v[40:41], v[16:17]
	v_add_f64 v[42:43], v[42:43], v[18:19]
	v_fma_f64 v[26:27], v[6:7], s[22:23], v[26:27]
	v_fma_f64 v[24:25], v[4:5], s[22:23], v[24:25]
	v_fma_f64 v[72:73], v[84:85], v[20:21], -v[122:123]
	v_fma_f64 v[74:75], v[86:87], v[20:21], v[22:23]
	v_add_f64 v[32:33], v[8:9], v[16:17]
	v_add_f64 v[34:35], v[10:11], v[18:19]
	;; [unrolled: 1-line block ×4, first 2 shown]
	v_fma_f64 v[16:17], v[6:7], s[22:23], v[14:15]
	v_fma_f64 v[18:19], v[4:5], s[22:23], v[12:13]
	v_add_f64 v[8:9], v[26:27], v[40:41]
	v_add_f64 v[10:11], v[42:43], -v[24:25]
	v_add_f64 v[20:21], v[40:41], -v[26:27]
	v_add_f64 v[22:23], v[24:25], v[42:43]
	v_add_f64 v[24:25], v[36:37], v[72:73]
	;; [unrolled: 1-line block ×5, first 2 shown]
	v_add_f64 v[12:13], v[56:57], -v[16:17]
	v_add_f64 v[14:15], v[18:19], v[58:59]
	v_add_f64 v[16:17], v[16:17], v[56:57]
	v_add_f64 v[18:19], v[58:59], -v[18:19]
	v_add_f64 v[36:37], v[36:37], -v[72:73]
	;; [unrolled: 1-line block ×5, first 2 shown]
	v_add_f64 v[56:57], v[52:53], v[68:69]
	v_add_f64 v[58:59], v[54:55], v[70:71]
	v_add_f64 v[52:53], v[68:69], -v[52:53]
	v_add_f64 v[54:55], v[70:71], -v[54:55]
	v_add_f64 v[68:69], v[40:41], v[24:25]
	v_add_f64 v[70:71], v[42:43], v[26:27]
	v_add_f64 v[72:73], v[40:41], -v[24:25]
	v_add_f64 v[74:75], v[42:43], -v[26:27]
	;; [unrolled: 1-line block ×6, first 2 shown]
	v_add_f64 v[24:25], v[52:53], v[44:45]
	v_add_f64 v[26:27], v[54:55], v[46:47]
	v_add_f64 v[80:81], v[52:53], -v[44:45]
	v_add_f64 v[82:83], v[54:55], -v[46:47]
	v_add_f64 v[56:57], v[56:57], v[68:69]
	v_add_f64 v[58:59], v[58:59], v[70:71]
	v_add_f64 v[44:45], v[44:45], -v[36:37]
	v_add_f64 v[46:47], v[46:47], -v[38:39]
	v_add_f64 v[52:53], v[36:37], -v[52:53]
	v_add_f64 v[54:55], v[38:39], -v[54:55]
	v_add_f64 v[36:37], v[24:25], v[36:37]
	v_add_f64 v[38:39], v[26:27], v[38:39]
	;; [unrolled: 1-line block ×4, first 2 shown]
	v_mul_f64 v[28:29], v[76:77], s[6:7]
	v_mul_f64 v[30:31], v[78:79], s[6:7]
	;; [unrolled: 1-line block ×8, first 2 shown]
	v_fma_f64 v[56:57], v[56:57], s[14:15], v[24:25]
	v_fma_f64 v[58:59], v[58:59], s[14:15], v[26:27]
	;; [unrolled: 1-line block ×4, first 2 shown]
	v_fma_f64 v[68:69], v[72:73], s[16:17], -v[68:69]
	v_fma_f64 v[70:71], v[74:75], s[16:17], -v[70:71]
	;; [unrolled: 1-line block ×4, first 2 shown]
	v_fma_f64 v[72:73], v[52:53], s[20:21], v[76:77]
	v_fma_f64 v[74:75], v[54:55], s[20:21], v[78:79]
	v_fma_f64 v[44:45], v[44:45], s[10:11], -v[76:77]
	v_fma_f64 v[46:47], v[46:47], s[10:11], -v[78:79]
	;; [unrolled: 1-line block ×4, first 2 shown]
	v_fma_f64 v[50:51], v[6:7], s[22:23], v[50:51]
	v_fma_f64 v[48:49], v[4:5], s[22:23], v[48:49]
	v_add_f64 v[76:77], v[40:41], v[56:57]
	v_add_f64 v[78:79], v[42:43], v[58:59]
	;; [unrolled: 1-line block ×6, first 2 shown]
	v_fma_f64 v[74:75], v[38:39], s[22:23], v[74:75]
	v_fma_f64 v[72:73], v[36:37], s[22:23], v[72:73]
	;; [unrolled: 1-line block ×6, first 2 shown]
	v_add_f64 v[4:5], v[50:51], v[32:33]
	v_add_f64 v[6:7], v[34:35], -v[48:49]
	v_add_f64 v[28:29], v[32:33], -v[50:51]
	v_add_f64 v[30:31], v[48:49], v[34:35]
	v_add_f64 v[32:33], v[74:75], v[76:77]
	v_add_f64 v[34:35], v[78:79], -v[72:73]
	v_add_f64 v[36:37], v[54:55], v[56:57]
	v_add_f64 v[38:39], v[58:59], -v[52:53]
	v_add_f64 v[40:41], v[68:69], -v[46:47]
	v_add_f64 v[42:43], v[80:81], v[70:71]
	v_add_f64 v[44:45], v[46:47], v[68:69]
	v_add_f64 v[46:47], v[70:71], -v[80:81]
	v_add_f64 v[48:49], v[56:57], -v[54:55]
	v_add_f64 v[50:51], v[52:53], v[58:59]
	v_add_f64 v[52:53], v[76:77], -v[74:75]
	v_add_f64 v[54:55], v[72:73], v[78:79]
	ds_write_b128 v61, v[0:3]
	ds_write_b128 v61, v[4:7] offset:624
	ds_write_b128 v61, v[8:11] offset:1248
	ds_write_b128 v61, v[12:15] offset:1872
	ds_write_b128 v61, v[16:19] offset:2496
	ds_write_b128 v61, v[20:23] offset:3120
	ds_write_b128 v61, v[28:31] offset:3744
	ds_write_b128 v61, v[24:27] offset:4368
	ds_write_b128 v61, v[32:35] offset:4992
	ds_write_b128 v61, v[36:39] offset:5616
	ds_write_b128 v61, v[40:43] offset:6240
	ds_write_b128 v61, v[44:47] offset:6864
	ds_write_b128 v61, v[48:51] offset:7488
	ds_write_b128 v61, v[52:55] offset:8112
	v_mov_b32_e32 v4, s9
	v_add_co_u32_e32 v0, vcc, s8, v64
	v_addc_co_u32_e32 v1, vcc, v4, v65, vcc
	s_movk_i32 s4, 0x1000
	v_add_co_u32_e32 v0, vcc, s4, v0
	v_addc_co_u32_e32 v1, vcc, 0, v1, vcc
	s_waitcnt lgkmcnt(0)
	s_barrier
	global_load_dwordx4 v[0:3], v[0:1], off offset:64
	v_add_co_u32_e32 v5, vcc, s8, v66
	v_addc_co_u32_e32 v4, vcc, v4, v67, vcc
	v_add_co_u32_e32 v28, vcc, s4, v5
	v_addc_co_u32_e32 v29, vcc, 0, v4, vcc
	global_load_dwordx4 v[4:7], v[28:29], off offset:688
	global_load_dwordx4 v[8:11], v[28:29], off offset:1312
	;; [unrolled: 1-line block ×6, first 2 shown]
	ds_read_b128 v[28:31], v61 offset:4368
	ds_read_b128 v[32:35], v154
	ds_read_b128 v[36:39], v61 offset:624
	ds_read_b128 v[40:43], v61 offset:4992
	;; [unrolled: 1-line block ×12, first 2 shown]
	v_lshl_add_u32 v92, v153, 4, v155
	s_waitcnt vmcnt(0) lgkmcnt(0)
	s_barrier
	v_mul_f64 v[88:89], v[30:31], v[2:3]
	v_mul_f64 v[2:3], v[28:29], v[2:3]
	;; [unrolled: 1-line block ×4, first 2 shown]
	v_fma_f64 v[28:29], v[28:29], v[0:1], -v[88:89]
	v_fma_f64 v[2:3], v[30:31], v[0:1], v[2:3]
	v_mul_f64 v[0:1], v[46:47], v[10:11]
	v_fma_f64 v[30:31], v[40:41], v[4:5], -v[90:91]
	v_fma_f64 v[6:7], v[42:43], v[4:5], v[6:7]
	v_mul_f64 v[4:5], v[44:45], v[10:11]
	v_mul_f64 v[10:11], v[58:59], v[14:15]
	;; [unrolled: 1-line block ×7, first 2 shown]
	v_fma_f64 v[44:45], v[44:45], v[8:9], -v[0:1]
	v_fma_f64 v[46:47], v[46:47], v[8:9], v[4:5]
	v_fma_f64 v[56:57], v[56:57], v[12:13], -v[10:11]
	v_fma_f64 v[58:59], v[58:59], v[12:13], v[14:15]
	v_mul_f64 v[12:13], v[86:87], v[26:27]
	v_mul_f64 v[14:15], v[84:85], v[26:27]
	v_fma_f64 v[40:41], v[64:65], v[16:17], -v[40:41]
	v_fma_f64 v[64:65], v[66:67], v[16:17], v[18:19]
	v_fma_f64 v[42:43], v[80:81], v[20:21], -v[42:43]
	v_fma_f64 v[66:67], v[82:83], v[20:21], v[22:23]
	v_add_f64 v[0:1], v[32:33], -v[28:29]
	v_add_f64 v[2:3], v[34:35], -v[2:3]
	;; [unrolled: 1-line block ×6, first 2 shown]
	v_fma_f64 v[44:45], v[84:85], v[24:25], -v[12:13]
	v_fma_f64 v[46:47], v[86:87], v[24:25], v[14:15]
	v_add_f64 v[24:25], v[52:53], -v[56:57]
	v_add_f64 v[26:27], v[54:55], -v[58:59]
	v_fma_f64 v[12:13], v[32:33], 2.0, -v[0:1]
	v_fma_f64 v[14:15], v[34:35], 2.0, -v[2:3]
	;; [unrolled: 1-line block ×4, first 2 shown]
	v_add_f64 v[28:29], v[72:73], -v[40:41]
	v_add_f64 v[30:31], v[74:75], -v[64:65]
	;; [unrolled: 1-line block ×6, first 2 shown]
	v_fma_f64 v[20:21], v[48:49], 2.0, -v[8:9]
	v_fma_f64 v[22:23], v[50:51], 2.0, -v[10:11]
	;; [unrolled: 1-line block ×10, first 2 shown]
	ds_write_b128 v61, v[12:15]
	ds_write_b128 v61, v[0:3] offset:4368
	ds_write_b128 v61, v[16:19] offset:624
	ds_write_b128 v92, v[4:7] offset:4992
	ds_write_b128 v61, v[20:23] offset:1248
	ds_write_b128 v92, v[8:11] offset:5616
	ds_write_b128 v61, v[40:43] offset:1872
	ds_write_b128 v92, v[24:27] offset:6240
	ds_write_b128 v61, v[44:47] offset:2496
	ds_write_b128 v92, v[28:31] offset:6864
	ds_write_b128 v61, v[48:51] offset:3120
	ds_write_b128 v92, v[32:35] offset:7488
	ds_write_b128 v61, v[52:55] offset:3744
	ds_write_b128 v92, v[36:39] offset:8112
	s_waitcnt lgkmcnt(0)
	s_barrier
	s_and_saveexec_b64 s[4:5], s[0:1]
	s_cbranch_execz .LBB0_24
; %bb.23:
	v_lshl_add_u32 v10, v60, 4, v152
	v_mov_b32_e32 v61, 0
	ds_read_b128 v[0:3], v10
	v_mov_b32_e32 v4, s3
	v_add_co_u32_e32 v11, vcc, s2, v62
	v_addc_co_u32_e32 v12, vcc, v4, v63, vcc
	v_lshlrev_b64 v[4:5], 4, v[60:61]
	v_add_co_u32_e32 v8, vcc, v11, v4
	v_addc_co_u32_e32 v9, vcc, v12, v5, vcc
	ds_read_b128 v[4:7], v10 offset:624
	s_waitcnt lgkmcnt(1)
	global_store_dwordx4 v[8:9], v[0:3], off
	s_nop 0
	v_add_u32_e32 v0, 39, v60
	v_mov_b32_e32 v1, v61
	v_lshlrev_b64 v[0:1], 4, v[0:1]
	v_add_co_u32_e32 v0, vcc, v11, v0
	v_addc_co_u32_e32 v1, vcc, v12, v1, vcc
	s_waitcnt lgkmcnt(0)
	global_store_dwordx4 v[0:1], v[4:7], off
	ds_read_b128 v[0:3], v10 offset:1248
	v_add_u32_e32 v4, 0x4e, v60
	v_mov_b32_e32 v5, v61
	v_lshlrev_b64 v[4:5], 4, v[4:5]
	v_add_co_u32_e32 v8, vcc, v11, v4
	v_addc_co_u32_e32 v9, vcc, v12, v5, vcc
	ds_read_b128 v[4:7], v10 offset:1872
	s_waitcnt lgkmcnt(1)
	global_store_dwordx4 v[8:9], v[0:3], off
	s_nop 0
	v_add_u32_e32 v0, 0x75, v60
	v_mov_b32_e32 v1, v61
	v_lshlrev_b64 v[0:1], 4, v[0:1]
	v_add_co_u32_e32 v0, vcc, v11, v0
	v_addc_co_u32_e32 v1, vcc, v12, v1, vcc
	s_waitcnt lgkmcnt(0)
	global_store_dwordx4 v[0:1], v[4:7], off
	ds_read_b128 v[0:3], v10 offset:2496
	v_add_u32_e32 v4, 0x9c, v60
	v_mov_b32_e32 v5, v61
	;; [unrolled: 17-line block ×6, first 2 shown]
	v_lshlrev_b64 v[4:5], 4, v[4:5]
	v_add_u32_e32 v60, 0x1fb, v60
	v_add_co_u32_e32 v8, vcc, v11, v4
	v_addc_co_u32_e32 v9, vcc, v12, v5, vcc
	ds_read_b128 v[4:7], v10 offset:8112
	s_waitcnt lgkmcnt(1)
	global_store_dwordx4 v[8:9], v[0:3], off
	s_nop 0
	v_lshlrev_b64 v[0:1], 4, v[60:61]
	v_add_co_u32_e32 v0, vcc, v11, v0
	v_addc_co_u32_e32 v1, vcc, v12, v1, vcc
	s_waitcnt lgkmcnt(0)
	global_store_dwordx4 v[0:1], v[4:7], off
.LBB0_24:
	s_endpgm
	.section	.rodata,"a",@progbits
	.p2align	6, 0x0
	.amdhsa_kernel fft_rtc_fwd_len546_factors_13_3_7_2_wgs_117_tpt_39_halfLds_dp_ip_CI_unitstride_sbrr_C2R_dirReg
		.amdhsa_group_segment_fixed_size 0
		.amdhsa_private_segment_fixed_size 0
		.amdhsa_kernarg_size 88
		.amdhsa_user_sgpr_count 6
		.amdhsa_user_sgpr_private_segment_buffer 1
		.amdhsa_user_sgpr_dispatch_ptr 0
		.amdhsa_user_sgpr_queue_ptr 0
		.amdhsa_user_sgpr_kernarg_segment_ptr 1
		.amdhsa_user_sgpr_dispatch_id 0
		.amdhsa_user_sgpr_flat_scratch_init 0
		.amdhsa_user_sgpr_private_segment_size 0
		.amdhsa_uses_dynamic_stack 0
		.amdhsa_system_sgpr_private_segment_wavefront_offset 0
		.amdhsa_system_sgpr_workgroup_id_x 1
		.amdhsa_system_sgpr_workgroup_id_y 0
		.amdhsa_system_sgpr_workgroup_id_z 0
		.amdhsa_system_sgpr_workgroup_info 0
		.amdhsa_system_vgpr_workitem_id 0
		.amdhsa_next_free_vgpr 191
		.amdhsa_next_free_sgpr 46
		.amdhsa_reserve_vcc 1
		.amdhsa_reserve_flat_scratch 0
		.amdhsa_float_round_mode_32 0
		.amdhsa_float_round_mode_16_64 0
		.amdhsa_float_denorm_mode_32 3
		.amdhsa_float_denorm_mode_16_64 3
		.amdhsa_dx10_clamp 1
		.amdhsa_ieee_mode 1
		.amdhsa_fp16_overflow 0
		.amdhsa_exception_fp_ieee_invalid_op 0
		.amdhsa_exception_fp_denorm_src 0
		.amdhsa_exception_fp_ieee_div_zero 0
		.amdhsa_exception_fp_ieee_overflow 0
		.amdhsa_exception_fp_ieee_underflow 0
		.amdhsa_exception_fp_ieee_inexact 0
		.amdhsa_exception_int_div_zero 0
	.end_amdhsa_kernel
	.text
.Lfunc_end0:
	.size	fft_rtc_fwd_len546_factors_13_3_7_2_wgs_117_tpt_39_halfLds_dp_ip_CI_unitstride_sbrr_C2R_dirReg, .Lfunc_end0-fft_rtc_fwd_len546_factors_13_3_7_2_wgs_117_tpt_39_halfLds_dp_ip_CI_unitstride_sbrr_C2R_dirReg
                                        ; -- End function
	.section	.AMDGPU.csdata,"",@progbits
; Kernel info:
; codeLenInByte = 15436
; NumSgprs: 50
; NumVgprs: 191
; ScratchSize: 0
; MemoryBound: 0
; FloatMode: 240
; IeeeMode: 1
; LDSByteSize: 0 bytes/workgroup (compile time only)
; SGPRBlocks: 6
; VGPRBlocks: 47
; NumSGPRsForWavesPerEU: 50
; NumVGPRsForWavesPerEU: 191
; Occupancy: 1
; WaveLimiterHint : 1
; COMPUTE_PGM_RSRC2:SCRATCH_EN: 0
; COMPUTE_PGM_RSRC2:USER_SGPR: 6
; COMPUTE_PGM_RSRC2:TRAP_HANDLER: 0
; COMPUTE_PGM_RSRC2:TGID_X_EN: 1
; COMPUTE_PGM_RSRC2:TGID_Y_EN: 0
; COMPUTE_PGM_RSRC2:TGID_Z_EN: 0
; COMPUTE_PGM_RSRC2:TIDIG_COMP_CNT: 0
	.type	__hip_cuid_240372fb07c85ea5,@object ; @__hip_cuid_240372fb07c85ea5
	.section	.bss,"aw",@nobits
	.globl	__hip_cuid_240372fb07c85ea5
__hip_cuid_240372fb07c85ea5:
	.byte	0                               ; 0x0
	.size	__hip_cuid_240372fb07c85ea5, 1

	.ident	"AMD clang version 19.0.0git (https://github.com/RadeonOpenCompute/llvm-project roc-6.4.0 25133 c7fe45cf4b819c5991fe208aaa96edf142730f1d)"
	.section	".note.GNU-stack","",@progbits
	.addrsig
	.addrsig_sym __hip_cuid_240372fb07c85ea5
	.amdgpu_metadata
---
amdhsa.kernels:
  - .args:
      - .actual_access:  read_only
        .address_space:  global
        .offset:         0
        .size:           8
        .value_kind:     global_buffer
      - .offset:         8
        .size:           8
        .value_kind:     by_value
      - .actual_access:  read_only
        .address_space:  global
        .offset:         16
        .size:           8
        .value_kind:     global_buffer
      - .actual_access:  read_only
        .address_space:  global
        .offset:         24
        .size:           8
        .value_kind:     global_buffer
      - .offset:         32
        .size:           8
        .value_kind:     by_value
      - .actual_access:  read_only
        .address_space:  global
        .offset:         40
        .size:           8
        .value_kind:     global_buffer
      - .actual_access:  read_only
        .address_space:  global
        .offset:         48
        .size:           8
        .value_kind:     global_buffer
      - .offset:         56
        .size:           4
        .value_kind:     by_value
      - .actual_access:  read_only
        .address_space:  global
        .offset:         64
        .size:           8
        .value_kind:     global_buffer
      - .actual_access:  read_only
        .address_space:  global
        .offset:         72
        .size:           8
        .value_kind:     global_buffer
      - .address_space:  global
        .offset:         80
        .size:           8
        .value_kind:     global_buffer
    .group_segment_fixed_size: 0
    .kernarg_segment_align: 8
    .kernarg_segment_size: 88
    .language:       OpenCL C
    .language_version:
      - 2
      - 0
    .max_flat_workgroup_size: 117
    .name:           fft_rtc_fwd_len546_factors_13_3_7_2_wgs_117_tpt_39_halfLds_dp_ip_CI_unitstride_sbrr_C2R_dirReg
    .private_segment_fixed_size: 0
    .sgpr_count:     50
    .sgpr_spill_count: 0
    .symbol:         fft_rtc_fwd_len546_factors_13_3_7_2_wgs_117_tpt_39_halfLds_dp_ip_CI_unitstride_sbrr_C2R_dirReg.kd
    .uniform_work_group_size: 1
    .uses_dynamic_stack: false
    .vgpr_count:     191
    .vgpr_spill_count: 0
    .wavefront_size: 64
amdhsa.target:   amdgcn-amd-amdhsa--gfx906
amdhsa.version:
  - 1
  - 2
...

	.end_amdgpu_metadata
